;; amdgpu-corpus repo=ROCm/rocFFT kind=compiled arch=gfx906 opt=O3
	.text
	.amdgcn_target "amdgcn-amd-amdhsa--gfx906"
	.amdhsa_code_object_version 6
	.protected	fft_rtc_back_len1008_factors_2_2_2_2_3_3_7_wgs_56_tpt_56_halfLds_sp_op_CI_CI_sbrr_dirReg ; -- Begin function fft_rtc_back_len1008_factors_2_2_2_2_3_3_7_wgs_56_tpt_56_halfLds_sp_op_CI_CI_sbrr_dirReg
	.globl	fft_rtc_back_len1008_factors_2_2_2_2_3_3_7_wgs_56_tpt_56_halfLds_sp_op_CI_CI_sbrr_dirReg
	.p2align	8
	.type	fft_rtc_back_len1008_factors_2_2_2_2_3_3_7_wgs_56_tpt_56_halfLds_sp_op_CI_CI_sbrr_dirReg,@function
fft_rtc_back_len1008_factors_2_2_2_2_3_3_7_wgs_56_tpt_56_halfLds_sp_op_CI_CI_sbrr_dirReg: ; @fft_rtc_back_len1008_factors_2_2_2_2_3_3_7_wgs_56_tpt_56_halfLds_sp_op_CI_CI_sbrr_dirReg
; %bb.0:
	s_load_dwordx4 s[16:19], s[4:5], 0x18
	s_load_dwordx4 s[8:11], s[4:5], 0x0
	;; [unrolled: 1-line block ×3, first 2 shown]
	v_mul_u32_u24_e32 v1, 0x493, v0
	v_mov_b32_e32 v7, 0
	s_waitcnt lgkmcnt(0)
	s_load_dwordx2 s[20:21], s[16:17], 0x0
	s_load_dwordx2 s[2:3], s[18:19], 0x0
	v_cmp_lt_u64_e64 s[0:1], s[10:11], 2
	v_mov_b32_e32 v5, 0
	v_add_u32_sdwa v9, s6, v1 dst_sel:DWORD dst_unused:UNUSED_PAD src0_sel:DWORD src1_sel:WORD_1
	v_mov_b32_e32 v10, v7
	s_and_b64 vcc, exec, s[0:1]
	v_mov_b32_e32 v6, 0
	s_cbranch_vccnz .LBB0_8
; %bb.1:
	s_load_dwordx2 s[0:1], s[4:5], 0x10
	s_add_u32 s6, s18, 8
	s_addc_u32 s7, s19, 0
	s_add_u32 s22, s16, 8
	s_addc_u32 s23, s17, 0
	v_mov_b32_e32 v5, 0
	s_waitcnt lgkmcnt(0)
	s_add_u32 s24, s0, 8
	v_mov_b32_e32 v6, 0
	v_mov_b32_e32 v1, v5
	s_addc_u32 s25, s1, 0
	s_mov_b64 s[26:27], 1
	v_mov_b32_e32 v2, v6
.LBB0_2:                                ; =>This Inner Loop Header: Depth=1
	s_load_dwordx2 s[28:29], s[24:25], 0x0
                                        ; implicit-def: $vgpr3_vgpr4
	s_waitcnt lgkmcnt(0)
	v_or_b32_e32 v8, s29, v10
	v_cmp_ne_u64_e32 vcc, 0, v[7:8]
	s_and_saveexec_b64 s[0:1], vcc
	s_xor_b64 s[30:31], exec, s[0:1]
	s_cbranch_execz .LBB0_4
; %bb.3:                                ;   in Loop: Header=BB0_2 Depth=1
	v_cvt_f32_u32_e32 v3, s28
	v_cvt_f32_u32_e32 v4, s29
	s_sub_u32 s0, 0, s28
	s_subb_u32 s1, 0, s29
	v_mac_f32_e32 v3, 0x4f800000, v4
	v_rcp_f32_e32 v3, v3
	v_mul_f32_e32 v3, 0x5f7ffffc, v3
	v_mul_f32_e32 v4, 0x2f800000, v3
	v_trunc_f32_e32 v4, v4
	v_mac_f32_e32 v3, 0xcf800000, v4
	v_cvt_u32_f32_e32 v4, v4
	v_cvt_u32_f32_e32 v3, v3
	v_mul_lo_u32 v8, s0, v4
	v_mul_hi_u32 v11, s0, v3
	v_mul_lo_u32 v13, s1, v3
	v_mul_lo_u32 v12, s0, v3
	v_add_u32_e32 v8, v11, v8
	v_add_u32_e32 v8, v8, v13
	v_mul_hi_u32 v11, v3, v12
	v_mul_lo_u32 v13, v3, v8
	v_mul_hi_u32 v15, v3, v8
	v_mul_hi_u32 v14, v4, v12
	v_mul_lo_u32 v12, v4, v12
	v_mul_hi_u32 v16, v4, v8
	v_add_co_u32_e32 v11, vcc, v11, v13
	v_addc_co_u32_e32 v13, vcc, 0, v15, vcc
	v_mul_lo_u32 v8, v4, v8
	v_add_co_u32_e32 v11, vcc, v11, v12
	v_addc_co_u32_e32 v11, vcc, v13, v14, vcc
	v_addc_co_u32_e32 v12, vcc, 0, v16, vcc
	v_add_co_u32_e32 v8, vcc, v11, v8
	v_addc_co_u32_e32 v11, vcc, 0, v12, vcc
	v_add_co_u32_e32 v3, vcc, v3, v8
	v_addc_co_u32_e32 v4, vcc, v4, v11, vcc
	v_mul_lo_u32 v8, s0, v4
	v_mul_hi_u32 v11, s0, v3
	v_mul_lo_u32 v12, s1, v3
	v_mul_lo_u32 v13, s0, v3
	v_add_u32_e32 v8, v11, v8
	v_add_u32_e32 v8, v8, v12
	v_mul_lo_u32 v14, v3, v8
	v_mul_hi_u32 v15, v3, v13
	v_mul_hi_u32 v16, v3, v8
	;; [unrolled: 1-line block ×3, first 2 shown]
	v_mul_lo_u32 v13, v4, v13
	v_mul_hi_u32 v11, v4, v8
	v_add_co_u32_e32 v14, vcc, v15, v14
	v_addc_co_u32_e32 v15, vcc, 0, v16, vcc
	v_mul_lo_u32 v8, v4, v8
	v_add_co_u32_e32 v13, vcc, v14, v13
	v_addc_co_u32_e32 v12, vcc, v15, v12, vcc
	v_addc_co_u32_e32 v11, vcc, 0, v11, vcc
	v_add_co_u32_e32 v8, vcc, v12, v8
	v_addc_co_u32_e32 v11, vcc, 0, v11, vcc
	v_add_co_u32_e32 v8, vcc, v3, v8
	v_addc_co_u32_e32 v11, vcc, v4, v11, vcc
	v_mad_u64_u32 v[3:4], s[0:1], v9, v11, 0
	v_mul_hi_u32 v12, v9, v8
	v_add_co_u32_e32 v13, vcc, v12, v3
	v_addc_co_u32_e32 v14, vcc, 0, v4, vcc
	v_mad_u64_u32 v[3:4], s[0:1], v10, v8, 0
	v_mad_u64_u32 v[11:12], s[0:1], v10, v11, 0
	v_add_co_u32_e32 v3, vcc, v13, v3
	v_addc_co_u32_e32 v3, vcc, v14, v4, vcc
	v_addc_co_u32_e32 v4, vcc, 0, v12, vcc
	v_add_co_u32_e32 v8, vcc, v3, v11
	v_addc_co_u32_e32 v11, vcc, 0, v4, vcc
	v_mul_lo_u32 v12, s29, v8
	v_mul_lo_u32 v13, s28, v11
	v_mad_u64_u32 v[3:4], s[0:1], s28, v8, 0
	v_add3_u32 v4, v4, v13, v12
	v_sub_u32_e32 v12, v10, v4
	v_mov_b32_e32 v13, s29
	v_sub_co_u32_e32 v3, vcc, v9, v3
	v_subb_co_u32_e64 v12, s[0:1], v12, v13, vcc
	v_subrev_co_u32_e64 v13, s[0:1], s28, v3
	v_subbrev_co_u32_e64 v12, s[0:1], 0, v12, s[0:1]
	v_cmp_le_u32_e64 s[0:1], s29, v12
	v_cndmask_b32_e64 v14, 0, -1, s[0:1]
	v_cmp_le_u32_e64 s[0:1], s28, v13
	v_cndmask_b32_e64 v13, 0, -1, s[0:1]
	v_cmp_eq_u32_e64 s[0:1], s29, v12
	v_cndmask_b32_e64 v12, v14, v13, s[0:1]
	v_add_co_u32_e64 v13, s[0:1], 2, v8
	v_addc_co_u32_e64 v14, s[0:1], 0, v11, s[0:1]
	v_add_co_u32_e64 v15, s[0:1], 1, v8
	v_addc_co_u32_e64 v16, s[0:1], 0, v11, s[0:1]
	v_subb_co_u32_e32 v4, vcc, v10, v4, vcc
	v_cmp_ne_u32_e64 s[0:1], 0, v12
	v_cmp_le_u32_e32 vcc, s29, v4
	v_cndmask_b32_e64 v12, v16, v14, s[0:1]
	v_cndmask_b32_e64 v14, 0, -1, vcc
	v_cmp_le_u32_e32 vcc, s28, v3
	v_cndmask_b32_e64 v3, 0, -1, vcc
	v_cmp_eq_u32_e32 vcc, s29, v4
	v_cndmask_b32_e32 v3, v14, v3, vcc
	v_cmp_ne_u32_e32 vcc, 0, v3
	v_cndmask_b32_e64 v3, v15, v13, s[0:1]
	v_cndmask_b32_e32 v4, v11, v12, vcc
	v_cndmask_b32_e32 v3, v8, v3, vcc
.LBB0_4:                                ;   in Loop: Header=BB0_2 Depth=1
	s_andn2_saveexec_b64 s[0:1], s[30:31]
	s_cbranch_execz .LBB0_6
; %bb.5:                                ;   in Loop: Header=BB0_2 Depth=1
	v_cvt_f32_u32_e32 v3, s28
	s_sub_i32 s30, 0, s28
	v_rcp_iflag_f32_e32 v3, v3
	v_mul_f32_e32 v3, 0x4f7ffffe, v3
	v_cvt_u32_f32_e32 v3, v3
	v_mul_lo_u32 v4, s30, v3
	v_mul_hi_u32 v4, v3, v4
	v_add_u32_e32 v3, v3, v4
	v_mul_hi_u32 v3, v9, v3
	v_mul_lo_u32 v4, v3, s28
	v_add_u32_e32 v8, 1, v3
	v_sub_u32_e32 v4, v9, v4
	v_subrev_u32_e32 v11, s28, v4
	v_cmp_le_u32_e32 vcc, s28, v4
	v_cndmask_b32_e32 v4, v4, v11, vcc
	v_cndmask_b32_e32 v3, v3, v8, vcc
	v_add_u32_e32 v8, 1, v3
	v_cmp_le_u32_e32 vcc, s28, v4
	v_cndmask_b32_e32 v3, v3, v8, vcc
	v_mov_b32_e32 v4, v7
.LBB0_6:                                ;   in Loop: Header=BB0_2 Depth=1
	s_or_b64 exec, exec, s[0:1]
	v_mul_lo_u32 v8, v4, s28
	v_mul_lo_u32 v13, v3, s29
	v_mad_u64_u32 v[11:12], s[0:1], v3, s28, 0
	s_load_dwordx2 s[0:1], s[22:23], 0x0
	s_load_dwordx2 s[28:29], s[6:7], 0x0
	v_add3_u32 v8, v12, v13, v8
	v_sub_co_u32_e32 v9, vcc, v9, v11
	v_subb_co_u32_e32 v8, vcc, v10, v8, vcc
	s_waitcnt lgkmcnt(0)
	v_mul_lo_u32 v10, s0, v8
	v_mul_lo_u32 v11, s1, v9
	v_mad_u64_u32 v[5:6], s[0:1], s0, v9, v[5:6]
	v_mul_lo_u32 v8, s28, v8
	v_mul_lo_u32 v12, s29, v9
	v_mad_u64_u32 v[1:2], s[0:1], s28, v9, v[1:2]
	s_add_u32 s26, s26, 1
	s_addc_u32 s27, s27, 0
	s_add_u32 s6, s6, 8
	v_add3_u32 v2, v12, v2, v8
	s_addc_u32 s7, s7, 0
	v_mov_b32_e32 v8, s10
	s_add_u32 s22, s22, 8
	v_mov_b32_e32 v9, s11
	s_addc_u32 s23, s23, 0
	v_cmp_ge_u64_e32 vcc, s[26:27], v[8:9]
	s_add_u32 s24, s24, 8
	v_add3_u32 v6, v11, v6, v10
	s_addc_u32 s25, s25, 0
	s_cbranch_vccnz .LBB0_9
; %bb.7:                                ;   in Loop: Header=BB0_2 Depth=1
	v_mov_b32_e32 v10, v4
	v_mov_b32_e32 v9, v3
	s_branch .LBB0_2
.LBB0_8:
	v_mov_b32_e32 v1, v5
	v_mov_b32_e32 v3, v9
	;; [unrolled: 1-line block ×4, first 2 shown]
.LBB0_9:
	s_load_dwordx2 s[0:1], s[4:5], 0x28
	s_lshl_b64 s[10:11], s[10:11], 3
	s_add_u32 s4, s18, s10
	s_addc_u32 s5, s19, s11
                                        ; implicit-def: $sgpr18_sgpr19
                                        ; implicit-def: $vgpr42
                                        ; implicit-def: $vgpr44
                                        ; implicit-def: $vgpr43
                                        ; implicit-def: $vgpr46
                                        ; implicit-def: $vgpr47
                                        ; implicit-def: $vgpr45
                                        ; implicit-def: $vgpr48
                                        ; implicit-def: $vgpr49
                                        ; implicit-def: $vgpr50
	s_waitcnt lgkmcnt(0)
	v_cmp_gt_u64_e32 vcc, s[0:1], v[3:4]
	v_cmp_le_u64_e64 s[0:1], s[0:1], v[3:4]
	s_and_saveexec_b64 s[6:7], s[0:1]
	s_xor_b64 s[0:1], exec, s[6:7]
	s_cbranch_execz .LBB0_11
; %bb.10:
	s_mov_b32 s6, 0x4924925
	v_mul_hi_u32 v5, v0, s6
	s_mov_b64 s[18:19], 0
	v_mul_u32_u24_e32 v5, 56, v5
	v_sub_u32_e32 v42, v0, v5
	v_add_u32_e32 v44, 56, v42
	v_add_u32_e32 v43, 0x70, v42
	;; [unrolled: 1-line block ×7, first 2 shown]
	v_or_b32_e32 v50, 0x1c0, v42
                                        ; implicit-def: $vgpr0
                                        ; implicit-def: $vgpr5_vgpr6
.LBB0_11:
	s_or_saveexec_b64 s[6:7], s[0:1]
	v_mov_b32_e32 v39, s19
	v_mov_b32_e32 v33, s19
	;; [unrolled: 1-line block ×18, first 2 shown]
                                        ; implicit-def: $vgpr41
                                        ; implicit-def: $vgpr15
                                        ; implicit-def: $vgpr11
                                        ; implicit-def: $vgpr7
                                        ; implicit-def: $vgpr13
                                        ; implicit-def: $vgpr17
                                        ; implicit-def: $vgpr9
                                        ; implicit-def: $vgpr25
                                        ; implicit-def: $vgpr27
	s_xor_b64 exec, exec, s[6:7]
	s_cbranch_execz .LBB0_13
; %bb.12:
	s_add_u32 s0, s16, s10
	s_mov_b32 s10, 0x4924925
	v_mul_hi_u32 v7, v0, s10
	s_addc_u32 s1, s17, s11
	s_load_dwordx2 s[0:1], s[0:1], 0x0
	v_lshlrev_b64 v[5:6], 3, v[5:6]
	v_mul_u32_u24_e32 v7, 56, v7
	v_sub_u32_e32 v42, v0, v7
	v_mad_u64_u32 v[7:8], s[10:11], s20, v42, 0
	s_waitcnt lgkmcnt(0)
	v_mul_lo_u32 v13, s1, v3
	v_mul_lo_u32 v14, s0, v4
	v_mad_u64_u32 v[9:10], s[0:1], s0, v3, 0
	v_mov_b32_e32 v0, v8
	v_mad_u64_u32 v[11:12], s[0:1], s21, v42, v[0:1]
	v_add3_u32 v10, v10, v14, v13
	v_lshlrev_b64 v[9:10], 3, v[9:10]
	v_mov_b32_e32 v8, v11
	v_mov_b32_e32 v0, s13
	v_add_co_u32_e64 v11, s[0:1], s12, v9
	v_add_u32_e32 v12, 0x1f8, v42
	v_addc_co_u32_e64 v0, s[0:1], v0, v10, s[0:1]
	v_mad_u64_u32 v[9:10], s[0:1], s20, v12, 0
	v_add_co_u32_e64 v14, s[0:1], v11, v5
	v_addc_co_u32_e64 v15, s[0:1], v0, v6, s[0:1]
	v_mov_b32_e32 v0, v10
	v_add_u32_e32 v44, 56, v42
	v_lshlrev_b64 v[5:6], 3, v[7:8]
	v_mad_u64_u32 v[7:8], s[0:1], s21, v12, v[0:1]
	v_mad_u64_u32 v[11:12], s[0:1], s20, v44, 0
	v_add_co_u32_e64 v16, s[0:1], v14, v5
	v_mov_b32_e32 v10, v7
	v_mov_b32_e32 v0, v12
	v_addc_co_u32_e64 v17, s[0:1], v15, v6, s[0:1]
	v_lshlrev_b64 v[5:6], 3, v[9:10]
	v_mad_u64_u32 v[7:8], s[0:1], s21, v44, v[0:1]
	v_add_u32_e32 v10, 0x230, v42
	v_mad_u64_u32 v[8:9], s[0:1], s20, v10, 0
	v_add_co_u32_e64 v30, s[0:1], v14, v5
	v_mov_b32_e32 v0, v9
	v_addc_co_u32_e64 v31, s[0:1], v15, v6, s[0:1]
	v_mov_b32_e32 v12, v7
	v_mad_u64_u32 v[9:10], s[0:1], s21, v10, v[0:1]
	v_add_u32_e32 v43, 0x70, v42
	v_lshlrev_b64 v[5:6], 3, v[11:12]
	v_mad_u64_u32 v[10:11], s[0:1], s20, v43, 0
	v_add_co_u32_e64 v12, s[0:1], v14, v5
	v_mov_b32_e32 v0, v11
	v_addc_co_u32_e64 v13, s[0:1], v15, v6, s[0:1]
	v_lshlrev_b64 v[5:6], 3, v[8:9]
	v_mad_u64_u32 v[7:8], s[0:1], s21, v43, v[0:1]
	v_add_u32_e32 v18, 0x268, v42
	v_mad_u64_u32 v[8:9], s[0:1], s20, v18, 0
	v_add_co_u32_e64 v51, s[0:1], v14, v5
	v_mov_b32_e32 v11, v7
	v_mov_b32_e32 v0, v9
	v_addc_co_u32_e64 v52, s[0:1], v15, v6, s[0:1]
	v_lshlrev_b64 v[5:6], 3, v[10:11]
	v_mad_u64_u32 v[9:10], s[0:1], s21, v18, v[0:1]
	v_add_u32_e32 v46, 0xa8, v42
	v_mad_u64_u32 v[10:11], s[0:1], s20, v46, 0
	v_add_co_u32_e64 v53, s[0:1], v14, v5
	v_mov_b32_e32 v0, v11
	v_addc_co_u32_e64 v54, s[0:1], v15, v6, s[0:1]
	v_lshlrev_b64 v[5:6], 3, v[8:9]
	v_mad_u64_u32 v[7:8], s[0:1], s21, v46, v[0:1]
	v_add_u32_e32 v18, 0x2a0, v42
	v_mad_u64_u32 v[8:9], s[0:1], s20, v18, 0
	v_add_co_u32_e64 v55, s[0:1], v14, v5
	v_mov_b32_e32 v11, v7
	v_mov_b32_e32 v0, v9
	v_addc_co_u32_e64 v56, s[0:1], v15, v6, s[0:1]
	v_lshlrev_b64 v[5:6], 3, v[10:11]
	v_mad_u64_u32 v[9:10], s[0:1], s21, v18, v[0:1]
	v_add_u32_e32 v47, 0xe0, v42
	v_mad_u64_u32 v[10:11], s[0:1], s20, v47, 0
	v_add_co_u32_e64 v57, s[0:1], v14, v5
	v_mov_b32_e32 v0, v11
	v_addc_co_u32_e64 v58, s[0:1], v15, v6, s[0:1]
	v_lshlrev_b64 v[5:6], 3, v[8:9]
	v_mad_u64_u32 v[7:8], s[0:1], s21, v47, v[0:1]
	v_add_u32_e32 v18, 0x2d8, v42
	v_mad_u64_u32 v[8:9], s[0:1], s20, v18, 0
	v_add_co_u32_e64 v59, s[0:1], v14, v5
	v_mov_b32_e32 v11, v7
	v_mov_b32_e32 v0, v9
	v_addc_co_u32_e64 v60, s[0:1], v15, v6, s[0:1]
	v_lshlrev_b64 v[5:6], 3, v[10:11]
	v_mad_u64_u32 v[9:10], s[0:1], s21, v18, v[0:1]
	v_add_u32_e32 v45, 0x118, v42
	v_mad_u64_u32 v[10:11], s[0:1], s20, v45, 0
	v_add_co_u32_e64 v61, s[0:1], v14, v5
	v_mov_b32_e32 v0, v11
	v_addc_co_u32_e64 v62, s[0:1], v15, v6, s[0:1]
	v_lshlrev_b64 v[5:6], 3, v[8:9]
	v_mad_u64_u32 v[7:8], s[0:1], s21, v45, v[0:1]
	v_add_u32_e32 v18, 0x310, v42
	v_mad_u64_u32 v[8:9], s[0:1], s20, v18, 0
	v_add_co_u32_e64 v63, s[0:1], v14, v5
	v_mov_b32_e32 v11, v7
	v_mov_b32_e32 v0, v9
	v_addc_co_u32_e64 v64, s[0:1], v15, v6, s[0:1]
	v_lshlrev_b64 v[5:6], 3, v[10:11]
	v_mad_u64_u32 v[9:10], s[0:1], s21, v18, v[0:1]
	v_add_u32_e32 v48, 0x150, v42
	v_mad_u64_u32 v[10:11], s[0:1], s20, v48, 0
	v_add_co_u32_e64 v65, s[0:1], v14, v5
	v_mov_b32_e32 v0, v11
	v_addc_co_u32_e64 v66, s[0:1], v15, v6, s[0:1]
	v_lshlrev_b64 v[5:6], 3, v[8:9]
	v_mad_u64_u32 v[7:8], s[0:1], s21, v48, v[0:1]
	v_add_u32_e32 v18, 0x348, v42
	v_mad_u64_u32 v[8:9], s[0:1], s20, v18, 0
	v_add_co_u32_e64 v67, s[0:1], v14, v5
	v_mov_b32_e32 v11, v7
	v_mov_b32_e32 v0, v9
	v_addc_co_u32_e64 v68, s[0:1], v15, v6, s[0:1]
	v_lshlrev_b64 v[5:6], 3, v[10:11]
	v_mad_u64_u32 v[9:10], s[0:1], s21, v18, v[0:1]
	v_add_u32_e32 v49, 0x188, v42
	v_mad_u64_u32 v[10:11], s[0:1], s20, v49, 0
	v_add_co_u32_e64 v69, s[0:1], v14, v5
	v_mov_b32_e32 v0, v11
	v_addc_co_u32_e64 v70, s[0:1], v15, v6, s[0:1]
	v_lshlrev_b64 v[5:6], 3, v[8:9]
	v_mad_u64_u32 v[7:8], s[0:1], s21, v49, v[0:1]
	v_or_b32_e32 v18, 0x380, v42
	v_mad_u64_u32 v[8:9], s[0:1], s20, v18, 0
	v_add_co_u32_e64 v71, s[0:1], v14, v5
	v_mov_b32_e32 v11, v7
	v_mov_b32_e32 v0, v9
	v_addc_co_u32_e64 v72, s[0:1], v15, v6, s[0:1]
	v_lshlrev_b64 v[5:6], 3, v[10:11]
	v_mad_u64_u32 v[9:10], s[0:1], s21, v18, v[0:1]
	v_or_b32_e32 v50, 0x1c0, v42
	v_mad_u64_u32 v[10:11], s[0:1], s20, v50, 0
	v_add_co_u32_e64 v73, s[0:1], v14, v5
	v_mov_b32_e32 v0, v11
	v_addc_co_u32_e64 v74, s[0:1], v15, v6, s[0:1]
	v_lshlrev_b64 v[5:6], 3, v[8:9]
	v_mad_u64_u32 v[7:8], s[0:1], s21, v50, v[0:1]
	v_add_u32_e32 v18, 0x3b8, v42
	v_mad_u64_u32 v[8:9], s[0:1], s20, v18, 0
	v_add_co_u32_e64 v75, s[0:1], v14, v5
	v_mov_b32_e32 v11, v7
	v_mov_b32_e32 v0, v9
	v_addc_co_u32_e64 v76, s[0:1], v15, v6, s[0:1]
	v_lshlrev_b64 v[5:6], 3, v[10:11]
	v_mad_u64_u32 v[9:10], s[0:1], s21, v18, v[0:1]
	v_add_co_u32_e64 v77, s[0:1], v14, v5
	v_addc_co_u32_e64 v78, s[0:1], v15, v6, s[0:1]
	v_lshlrev_b64 v[5:6], 3, v[8:9]
	v_add_co_u32_e64 v79, s[0:1], v14, v5
	v_addc_co_u32_e64 v80, s[0:1], v15, v6, s[0:1]
	global_load_dwordx2 v[38:39], v[16:17], off
	global_load_dwordx2 v[40:41], v[30:31], off
	;; [unrolled: 1-line block ×15, first 2 shown]
                                        ; kill: killed $vgpr59 killed $vgpr60
                                        ; kill: killed $vgpr71 killed $vgpr72
                                        ; kill: killed $vgpr12 killed $vgpr13
                                        ; kill: killed $vgpr61 killed $vgpr62
                                        ; kill: killed $vgpr73 killed $vgpr74
                                        ; kill: killed $vgpr16 killed $vgpr17
                                        ; kill: killed $vgpr51 killed $vgpr52
                                        ; kill: killed $vgpr63 killed $vgpr64
                                        ; kill: killed $vgpr30 killed $vgpr31
                                        ; kill: killed $vgpr53 killed $vgpr54
                                        ; kill: killed $vgpr65 killed $vgpr66
                                        ; kill: killed $vgpr55 killed $vgpr56
                                        ; kill: killed $vgpr67 killed $vgpr68
                                        ; kill: killed $vgpr57 killed $vgpr58
                                        ; kill: killed $vgpr69 killed $vgpr70
	global_load_dwordx2 v[12:13], v[75:76], off
	global_load_dwordx2 v[30:31], v[77:78], off
	;; [unrolled: 1-line block ×3, first 2 shown]
.LBB0_13:
	s_or_b64 exec, exec, s[6:7]
	s_waitcnt vmcnt(16)
	v_sub_f32_e32 v52, v38, v40
	s_waitcnt vmcnt(10)
	v_sub_f32_e32 v58, v36, v14
	v_fma_f32 v51, v38, 2.0, -v52
	v_fma_f32 v57, v36, 2.0, -v58
	v_lshl_add_u32 v36, v42, 3, 0
	v_sub_f32_e32 v54, v32, v26
	v_sub_f32_e32 v56, v34, v24
	ds_write_b64 v36, v[51:52]
	s_waitcnt vmcnt(8)
	v_sub_f32_e32 v52, v28, v10
	s_waitcnt vmcnt(6)
	v_sub_f32_e32 v6, v22, v6
	v_fma_f32 v53, v32, 2.0, -v54
	v_fma_f32 v55, v34, 2.0, -v56
	v_fma_f32 v51, v28, 2.0, -v52
	v_lshl_add_u32 v0, v44, 3, 0
	v_lshl_add_u32 v26, v43, 3, 0
	v_fma_f32 v5, v22, 2.0, -v6
	v_lshl_add_u32 v59, v46, 3, 0
	v_lshl_add_u32 v60, v47, 3, 0
	v_lshl_add_u32 v61, v45, 3, 0
	ds_write_b64 v0, v[53:54]
	ds_write_b64 v26, v[55:56]
	;; [unrolled: 1-line block ×4, first 2 shown]
	s_waitcnt vmcnt(4)
	v_sub_f32_e32 v52, v18, v8
	ds_write_b64 v61, v[5:6]
	s_waitcnt vmcnt(2)
	v_sub_f32_e32 v6, v20, v12
	v_fma_f32 v51, v18, 2.0, -v52
	v_lshl_add_u32 v62, v48, 3, 0
	v_fma_f32 v5, v20, 2.0, -v6
	v_lshl_add_u32 v63, v49, 3, 0
	ds_write_b64 v62, v[51:52]
	ds_write_b64 v63, v[5:6]
	s_waitcnt vmcnt(0)
	v_sub_f32_e32 v6, v30, v16
	v_fma_f32 v5, v30, 2.0, -v6
	v_lshl_add_u32 v64, v50, 3, 0
	ds_write_b64 v64, v[5:6]
	v_lshlrev_b32_e32 v6, 2, v46
	v_sub_u32_e32 v12, v59, v6
	v_lshlrev_b32_e32 v6, 2, v47
	v_sub_u32_e32 v14, v60, v6
	;; [unrolled: 2-line block ×3, first 2 shown]
	v_lshlrev_b32_e32 v6, 2, v48
	v_sub_f32_e32 v40, v39, v41
	v_lshlrev_b32_e32 v5, 2, v42
	v_sub_u32_e32 v22, v62, v6
	v_lshlrev_b32_e32 v6, 2, v49
	v_fma_f32 v39, v39, 2.0, -v40
	v_sub_u32_e32 v5, v36, v5
	v_sub_u32_e32 v32, v63, v6
	v_lshlrev_b32_e32 v6, 2, v50
	v_lshlrev_b32_e32 v10, 2, v44
	v_lshlrev_b32_e32 v20, 2, v43
	s_load_dwordx2 s[4:5], s[4:5], 0x0
	s_waitcnt lgkmcnt(0)
	; wave barrier
	s_waitcnt lgkmcnt(0)
	v_sub_u32_e32 v34, v64, v6
	ds_read_b32 v65, v5
	v_add_u32_e32 v6, 0x600, v5
	v_sub_u32_e32 v8, v0, v10
	v_sub_u32_e32 v16, v26, v20
	v_add_u32_e32 v24, 0x800, v5
	v_add_u32_e32 v28, 0xa00, v5
	ds_read_b32 v66, v12
	ds_read_b32 v67, v14
	;; [unrolled: 1-line block ×4, first 2 shown]
	v_add_u32_e32 v30, 0xc00, v5
	ds_read_b32 v70, v32
	ds_read_b32 v71, v34
	;; [unrolled: 1-line block ×4, first 2 shown]
	ds_read_b32 v74, v5 offset:3808
	ds_read2_b32 v[51:52], v6 offset0:120 offset1:176
	ds_read2_b32 v[53:54], v24 offset0:104 offset1:160
	;; [unrolled: 1-line block ×4, first 2 shown]
	s_waitcnt lgkmcnt(0)
	; wave barrier
	s_waitcnt lgkmcnt(0)
	ds_write_b64 v36, v[39:40]
	v_sub_f32_e32 v39, v33, v27
	v_fma_f32 v38, v33, 2.0, -v39
	v_sub_f32_e32 v36, v35, v25
	v_sub_f32_e32 v41, v37, v15
	v_fma_f32 v35, v35, 2.0, -v36
	v_fma_f32 v40, v37, 2.0, -v41
	ds_write_b64 v0, v[38:39]
	ds_write_b64 v26, v[35:36]
	ds_write_b64 v59, v[40:41]
	v_sub_f32_e32 v36, v29, v11
	v_fma_f32 v35, v29, 2.0, -v36
	ds_write_b64 v60, v[35:36]
	v_sub_f32_e32 v36, v23, v7
	v_fma_f32 v35, v23, 2.0, -v36
	ds_write_b64 v61, v[35:36]
	v_sub_f32_e32 v36, v19, v9
	v_and_b32_e32 v25, 1, v42
	v_fma_f32 v35, v19, 2.0, -v36
	v_sub_f32_e32 v38, v21, v13
	v_sub_f32_e32 v40, v31, v17
	v_lshlrev_b32_e32 v7, 3, v25
	v_fma_f32 v37, v21, 2.0, -v38
	v_fma_f32 v39, v31, 2.0, -v40
	ds_write_b64 v62, v[35:36]
	ds_write_b64 v63, v[37:38]
	;; [unrolled: 1-line block ×3, first 2 shown]
	s_waitcnt lgkmcnt(0)
	; wave barrier
	s_waitcnt lgkmcnt(0)
	global_load_dwordx2 v[35:36], v7, s[8:9]
	ds_read2_b32 v[37:38], v6 offset0:120 offset1:176
	ds_read2_b32 v[39:40], v24 offset0:104 offset1:160
	s_movk_i32 s0, 0x7c
	v_lshlrev_b32_e32 v23, 1, v46
	s_movk_i32 s1, 0x2fc
	s_mov_b32 s6, 0xaaab
	v_sub_u32_e32 v20, 0, v20
	s_waitcnt vmcnt(0)
	v_mul_f32_e32 v9, v51, v36
	v_mul_f32_e32 v13, v52, v36
	;; [unrolled: 1-line block ×4, first 2 shown]
	s_waitcnt lgkmcnt(1)
	v_mul_f32_e32 v7, v37, v36
	v_mul_f32_e32 v11, v38, v36
	v_fma_f32 v27, v37, v35, -v9
	v_fma_f32 v29, v38, v35, -v13
	s_waitcnt lgkmcnt(0)
	v_mul_f32_e32 v9, v39, v36
	v_mul_f32_e32 v13, v40, v36
	ds_read2_b32 v[37:38], v28 offset0:88 offset1:144
	v_fma_f32 v31, v39, v35, -v15
	v_fma_f32 v33, v40, v35, -v17
	ds_read2_b32 v[39:40], v30 offset0:72 offset1:128
	v_mul_f32_e32 v17, v55, v36
	v_mul_f32_e32 v19, v56, v36
	v_fmac_f32_e32 v7, v51, v35
	v_fmac_f32_e32 v11, v52, v35
	s_waitcnt lgkmcnt(1)
	v_mul_f32_e32 v15, v37, v36
	v_mul_f32_e32 v41, v38, v36
	v_fma_f32 v51, v37, v35, -v17
	v_fma_f32 v52, v38, v35, -v19
	s_waitcnt lgkmcnt(0)
	v_mul_f32_e32 v37, v39, v36
	v_mul_f32_e32 v38, v40, v36
	;; [unrolled: 1-line block ×4, first 2 shown]
	v_fmac_f32_e32 v9, v53, v35
	v_fmac_f32_e32 v13, v54, v35
	;; [unrolled: 1-line block ×6, first 2 shown]
	v_fma_f32 v53, v39, v35, -v17
	v_fma_f32 v54, v40, v35, -v19
	ds_read_b32 v17, v5 offset:3808
	ds_read_b32 v55, v12
	ds_read_b32 v56, v14
	;; [unrolled: 1-line block ×7, first 2 shown]
	v_mul_f32_e32 v19, v74, v36
	s_waitcnt lgkmcnt(7)
	v_mul_f32_e32 v40, v17, v36
	v_fma_f32 v61, v17, v35, -v19
	v_lshlrev_b32_e32 v17, 1, v42
	v_sub_f32_e32 v7, v65, v7
	v_and_or_b32 v21, v17, s0, v25
	v_fma_f32 v19, v65, 2.0, -v7
	v_lshl_add_u32 v64, v21, 2, 0
	ds_read_b32 v62, v32
	ds_read_b32 v63, v34
	s_waitcnt lgkmcnt(0)
	; wave barrier
	s_waitcnt lgkmcnt(0)
	ds_write2_b32 v64, v19, v7 offset1:2
	s_movk_i32 s0, 0xfc
	v_lshlrev_b32_e32 v19, 1, v44
	v_sub_f32_e32 v7, v73, v11
	v_and_or_b32 v21, v19, s0, v25
	v_fma_f32 v11, v73, 2.0, -v7
	v_lshl_add_u32 v65, v21, 2, 0
	s_movk_i32 s0, 0x1fc
	v_lshlrev_b32_e32 v21, 1, v43
	ds_write2_b32 v65, v11, v7 offset1:2
	v_sub_f32_e32 v7, v72, v9
	v_and_or_b32 v11, v21, s0, v25
	v_fma_f32 v9, v72, 2.0, -v7
	v_lshl_add_u32 v72, v11, 2, 0
	ds_write2_b32 v72, v9, v7 offset1:2
	v_sub_f32_e32 v7, v66, v13
	v_and_or_b32 v11, v23, s0, v25
	v_fma_f32 v9, v66, 2.0, -v7
	v_lshl_add_u32 v66, v11, 2, 0
	ds_write2_b32 v66, v9, v7 offset1:2
	s_movk_i32 s0, 0x3fc
	v_lshlrev_b32_e32 v9, 1, v47
	v_sub_f32_e32 v7, v67, v15
	v_and_or_b32 v13, v9, s0, v25
	v_fma_f32 v11, v67, 2.0, -v7
	v_lshl_add_u32 v67, v13, 2, 0
	v_lshlrev_b32_e32 v15, 1, v45
	ds_write2_b32 v67, v11, v7 offset1:2
	v_sub_f32_e32 v7, v68, v41
	v_and_or_b32 v13, v15, s1, v25
	v_fma_f32 v11, v68, 2.0, -v7
	v_lshl_add_u32 v41, v13, 2, 0
	ds_write2_b32 v41, v11, v7 offset1:2
	v_lshlrev_b32_e32 v11, 1, v48
	v_fmac_f32_e32 v40, v74, v35
	v_sub_f32_e32 v7, v69, v37
	v_and_or_b32 v35, v11, s0, v25
	v_fma_f32 v13, v69, 2.0, -v7
	v_lshl_add_u32 v68, v35, 2, 0
	ds_write2_b32 v68, v13, v7 offset1:2
	v_lshlrev_b32_e32 v7, 1, v49
	v_sub_f32_e32 v13, v70, v38
	v_and_or_b32 v36, v7, s0, v25
	v_fma_f32 v35, v70, 2.0, -v13
	v_lshl_add_u32 v69, v36, 2, 0
	ds_write2_b32 v69, v35, v13 offset1:2
	v_lshlrev_b32_e32 v13, 1, v50
	v_sub_f32_e32 v35, v71, v40
	v_and_or_b32 v25, v13, s0, v25
	v_sub_f32_e32 v27, v39, v27
	v_fma_f32 v36, v71, 2.0, -v35
	v_lshl_add_u32 v25, v25, 2, 0
	v_fma_f32 v50, v39, 2.0, -v27
	ds_write2_b32 v25, v36, v35 offset1:2
	s_waitcnt lgkmcnt(0)
	; wave barrier
	s_waitcnt lgkmcnt(0)
	ds_read_b32 v70, v5
	ds_read_b32 v71, v12
	;; [unrolled: 1-line block ×9, first 2 shown]
	ds_read_b32 v80, v5 offset:3808
	ds_read2_b32 v[35:36], v6 offset0:120 offset1:176
	ds_read2_b32 v[37:38], v24 offset0:104 offset1:160
	;; [unrolled: 1-line block ×4, first 2 shown]
	s_waitcnt lgkmcnt(0)
	; wave barrier
	s_waitcnt lgkmcnt(0)
	ds_write2_b32 v64, v50, v27 offset1:2
	v_sub_f32_e32 v27, v60, v29
	v_fma_f32 v29, v60, 2.0, -v27
	ds_write2_b32 v65, v29, v27 offset1:2
	v_sub_f32_e32 v27, v59, v31
	v_fma_f32 v29, v59, 2.0, -v27
	;; [unrolled: 3-line block ×8, first 2 shown]
	ds_write2_b32 v25, v29, v27 offset1:2
	v_and_b32_e32 v25, 3, v42
	v_lshlrev_b32_e32 v27, 3, v25
	s_waitcnt lgkmcnt(0)
	; wave barrier
	s_waitcnt lgkmcnt(0)
	global_load_dwordx2 v[50:51], v27, s[8:9] offset:16
	ds_read2_b32 v[52:53], v6 offset0:120 offset1:176
	ds_read2_b32 v[54:55], v24 offset0:104 offset1:160
	s_movk_i32 s0, 0x78
	s_movk_i32 s1, 0x2f8
	s_waitcnt vmcnt(0) lgkmcnt(1)
	v_mul_f32_e32 v27, v52, v51
	v_mul_f32_e32 v29, v53, v51
	v_fmac_f32_e32 v27, v35, v50
	v_fmac_f32_e32 v29, v36, v50
	v_mul_f32_e32 v31, v35, v51
	v_mul_f32_e32 v33, v36, v51
	ds_read2_b32 v[35:36], v28 offset0:88 offset1:144
	v_fma_f32 v31, v52, v50, -v31
	s_waitcnt lgkmcnt(1)
	v_mul_f32_e32 v41, v54, v51
	v_mul_f32_e32 v52, v55, v51
	v_fmac_f32_e32 v41, v37, v50
	v_fmac_f32_e32 v52, v38, v50
	v_mul_f32_e32 v37, v37, v51
	v_mul_f32_e32 v38, v38, v51
	v_fma_f32 v33, v53, v50, -v33
	v_fma_f32 v53, v54, v50, -v37
	;; [unrolled: 1-line block ×3, first 2 shown]
	ds_read2_b32 v[37:38], v30 offset0:72 offset1:128
	s_waitcnt lgkmcnt(1)
	v_mul_f32_e32 v55, v35, v51
	v_mul_f32_e32 v56, v36, v51
	v_fmac_f32_e32 v55, v39, v50
	v_fmac_f32_e32 v56, v40, v50
	v_mul_f32_e32 v39, v39, v51
	v_mul_f32_e32 v40, v40, v51
	v_fma_f32 v57, v35, v50, -v39
	v_fma_f32 v58, v36, v50, -v40
	v_mul_f32_e32 v39, v48, v51
	v_mul_f32_e32 v40, v49, v51
	s_waitcnt lgkmcnt(0)
	v_mul_f32_e32 v35, v37, v51
	v_mul_f32_e32 v36, v38, v51
	v_fma_f32 v59, v37, v50, -v39
	v_fma_f32 v60, v38, v50, -v40
	ds_read_b32 v37, v5 offset:3808
	ds_read_b32 v61, v12
	ds_read_b32 v62, v14
	;; [unrolled: 1-line block ×7, first 2 shown]
	s_waitcnt lgkmcnt(7)
	v_mul_f32_e32 v39, v37, v51
	v_mul_f32_e32 v40, v80, v51
	v_fmac_f32_e32 v35, v48, v50
	v_fmac_f32_e32 v36, v49, v50
	;; [unrolled: 1-line block ×3, first 2 shown]
	v_fma_f32 v50, v37, v50, -v40
	v_sub_f32_e32 v27, v70, v27
	v_and_or_b32 v40, v17, s0, v25
	v_fma_f32 v37, v70, 2.0, -v27
	v_lshl_add_u32 v68, v40, 2, 0
	s_movk_i32 s0, 0xf8
	ds_read_b32 v51, v32
	ds_read_b32 v67, v34
	s_waitcnt lgkmcnt(0)
	; wave barrier
	s_waitcnt lgkmcnt(0)
	ds_write2_b32 v68, v37, v27 offset1:4
	v_sub_f32_e32 v27, v79, v29
	v_and_or_b32 v37, v19, s0, v25
	v_fma_f32 v29, v79, 2.0, -v27
	v_lshl_add_u32 v69, v37, 2, 0
	s_movk_i32 s0, 0x1f8
	ds_write2_b32 v69, v29, v27 offset1:4
	v_sub_f32_e32 v27, v78, v41
	v_and_or_b32 v37, v21, s0, v25
	v_fma_f32 v29, v78, 2.0, -v27
	v_lshl_add_u32 v41, v37, 2, 0
	ds_write2_b32 v41, v29, v27 offset1:4
	v_sub_f32_e32 v27, v71, v52
	v_and_or_b32 v37, v23, s0, v25
	v_fma_f32 v29, v71, 2.0, -v27
	v_lshl_add_u32 v52, v37, 2, 0
	s_movk_i32 s0, 0x3f8
	ds_write2_b32 v52, v29, v27 offset1:4
	v_sub_f32_e32 v27, v73, v55
	v_and_or_b32 v37, v9, s0, v25
	v_fma_f32 v29, v73, 2.0, -v27
	v_lshl_add_u32 v55, v37, 2, 0
	ds_write2_b32 v55, v29, v27 offset1:4
	v_sub_f32_e32 v27, v74, v56
	v_and_or_b32 v37, v15, s1, v25
	v_fma_f32 v29, v74, 2.0, -v27
	v_lshl_add_u32 v56, v37, 2, 0
	;; [unrolled: 5-line block ×5, first 2 shown]
	ds_write2_b32 v25, v29, v27 offset1:4
	v_sub_f32_e32 v27, v38, v31
	v_fma_f32 v29, v38, 2.0, -v27
	s_waitcnt lgkmcnt(0)
	; wave barrier
	s_waitcnt lgkmcnt(0)
	ds_read_b32 v31, v5
	ds_read_b32 v72, v12
	;; [unrolled: 1-line block ×9, first 2 shown]
	ds_read_b32 v80, v5 offset:3808
	ds_read2_b32 v[35:36], v6 offset0:120 offset1:176
	ds_read2_b32 v[37:38], v24 offset0:104 offset1:160
	;; [unrolled: 1-line block ×4, first 2 shown]
	s_waitcnt lgkmcnt(0)
	; wave barrier
	s_waitcnt lgkmcnt(0)
	ds_write2_b32 v68, v29, v27 offset1:4
	v_sub_f32_e32 v27, v66, v33
	v_fma_f32 v29, v66, 2.0, -v27
	ds_write2_b32 v69, v29, v27 offset1:4
	v_sub_f32_e32 v27, v65, v53
	v_fma_f32 v29, v65, 2.0, -v27
	;; [unrolled: 3-line block ×8, first 2 shown]
	ds_write2_b32 v25, v29, v27 offset1:4
	v_and_b32_e32 v25, 7, v42
	v_lshlrev_b32_e32 v27, 3, v25
	s_waitcnt lgkmcnt(0)
	; wave barrier
	s_waitcnt lgkmcnt(0)
	global_load_dwordx2 v[50:51], v27, s[8:9] offset:48
	ds_read2_b32 v[52:53], v6 offset0:120 offset1:176
	ds_read2_b32 v[54:55], v24 offset0:104 offset1:160
	s_movk_i32 s0, 0x70
	v_and_or_b32 v17, v17, s0, v25
	v_lshl_add_u32 v17, v17, 2, 0
	s_movk_i32 s0, 0xf0
	v_and_or_b32 v19, v19, s0, v25
	v_lshl_add_u32 v19, v19, 2, 0
	;; [unrolled: 3-line block ×3, first 2 shown]
	v_and_or_b32 v23, v23, s0, v25
	s_movk_i32 s0, 0x3f0
	v_and_or_b32 v9, v9, s0, v25
	v_lshl_add_u32 v9, v9, 2, 0
	s_movk_i32 s1, 0x2f0
	v_and_or_b32 v15, v15, s1, v25
	v_lshl_add_u32 v15, v15, 2, 0
	v_and_or_b32 v11, v11, s0, v25
	v_lshl_add_u32 v11, v11, 2, 0
	v_and_or_b32 v7, v7, s0, v25
	v_and_or_b32 v13, v13, s0, v25
	v_lshl_add_u32 v7, v7, 2, 0
	v_lshl_add_u32 v13, v13, 2, 0
	s_movk_i32 s0, 0xab
	s_waitcnt vmcnt(0) lgkmcnt(1)
	v_mul_f32_e32 v27, v52, v51
	v_fmac_f32_e32 v27, v35, v50
	v_mul_f32_e32 v29, v53, v51
	v_mul_f32_e32 v33, v35, v51
	v_mul_f32_e32 v35, v36, v51
	v_fmac_f32_e32 v29, v36, v50
	v_fma_f32 v33, v52, v50, -v33
	v_fma_f32 v41, v53, v50, -v35
	s_waitcnt lgkmcnt(0)
	v_mul_f32_e32 v52, v54, v51
	v_mul_f32_e32 v53, v55, v51
	ds_read2_b32 v[35:36], v28 offset0:88 offset1:144
	v_fmac_f32_e32 v52, v37, v50
	v_fmac_f32_e32 v53, v38, v50
	v_mul_f32_e32 v37, v37, v51
	v_mul_f32_e32 v38, v38, v51
	v_fma_f32 v54, v54, v50, -v37
	v_fma_f32 v55, v55, v50, -v38
	ds_read2_b32 v[37:38], v30 offset0:72 offset1:128
	s_waitcnt lgkmcnt(1)
	v_mul_f32_e32 v56, v35, v51
	v_mul_f32_e32 v57, v36, v51
	v_fmac_f32_e32 v56, v39, v50
	v_fmac_f32_e32 v57, v40, v50
	v_mul_f32_e32 v39, v39, v51
	v_mul_f32_e32 v40, v40, v51
	v_fma_f32 v35, v35, v50, -v39
	v_fma_f32 v36, v36, v50, -v40
	s_waitcnt lgkmcnt(0)
	v_mul_f32_e32 v39, v37, v51
	v_mul_f32_e32 v40, v38, v51
	v_sub_f32_e32 v27, v31, v27
	v_fmac_f32_e32 v39, v48, v50
	v_fmac_f32_e32 v40, v49, v50
	v_mul_f32_e32 v48, v48, v51
	v_mul_f32_e32 v49, v49, v51
	v_fma_f32 v31, v31, 2.0, -v27
	v_fma_f32 v37, v37, v50, -v48
	v_fma_f32 v38, v38, v50, -v49
	ds_read_b32 v48, v5 offset:3808
	ds_read_b32 v49, v12
	ds_read_b32 v64, v14
	;; [unrolled: 1-line block ×9, first 2 shown]
	s_waitcnt lgkmcnt(0)
	; wave barrier
	s_waitcnt lgkmcnt(0)
	ds_write2_b32 v17, v31, v27 offset1:8
	v_sub_f32_e32 v27, v79, v29
	v_fma_f32 v29, v79, 2.0, -v27
	ds_write2_b32 v19, v29, v27 offset1:8
	v_sub_f32_e32 v27, v78, v52
	v_fma_f32 v29, v78, 2.0, -v27
	;; [unrolled: 3-line block ×3, first 2 shown]
	v_lshl_add_u32 v31, v23, 2, 0
	v_sub_f32_e32 v23, v73, v56
	ds_write2_b32 v31, v29, v27 offset1:8
	v_fma_f32 v27, v73, 2.0, -v23
	ds_write2_b32 v9, v27, v23 offset1:8
	v_sub_f32_e32 v23, v74, v57
	v_fma_f32 v27, v74, 2.0, -v23
	v_mul_f32_e32 v59, v48, v51
	ds_write2_b32 v15, v27, v23 offset1:8
	v_sub_f32_e32 v23, v75, v39
	v_fmac_f32_e32 v59, v80, v50
	v_fma_f32 v27, v75, 2.0, -v23
	ds_write2_b32 v11, v27, v23 offset1:8
	v_sub_f32_e32 v27, v58, v33
	v_sub_f32_e32 v23, v76, v40
	;; [unrolled: 1-line block ×3, first 2 shown]
	v_fma_f32 v29, v58, 2.0, -v27
	v_fma_f32 v33, v76, 2.0, -v23
	;; [unrolled: 1-line block ×3, first 2 shown]
	ds_write2_b32 v7, v33, v23 offset1:8
	ds_write2_b32 v13, v40, v39 offset1:8
	s_waitcnt lgkmcnt(0)
	; wave barrier
	s_waitcnt lgkmcnt(0)
	ds_read_b32 v25, v5
	v_add_u32_e32 v23, 0x400, v5
	ds_read_b32 v69, v12
	ds_read_b32 v70, v14
	;; [unrolled: 1-line block ×6, first 2 shown]
	ds_read_b32 v75, v5 offset:3808
	ds_read2_b32 v[39:40], v24 offset0:104 offset1:160
	ds_read2_b32 v[56:57], v23 offset0:136 offset1:192
	;; [unrolled: 1-line block ×5, first 2 shown]
	s_waitcnt lgkmcnt(0)
	; wave barrier
	s_waitcnt lgkmcnt(0)
	ds_write2_b32 v17, v29, v27 offset1:8
	v_sub_f32_e32 v17, v68, v41
	v_fma_f32 v27, v68, 2.0, -v17
	ds_write2_b32 v19, v27, v17 offset1:8
	v_sub_f32_e32 v17, v67, v54
	v_fma_f32 v19, v67, 2.0, -v17
	;; [unrolled: 3-line block ×3, first 2 shown]
	ds_write2_b32 v31, v19, v17 offset1:8
	v_sub_f32_e32 v17, v64, v35
	v_mul_f32_e32 v51, v80, v51
	v_fma_f32 v19, v64, 2.0, -v17
	v_fma_f32 v48, v48, v50, -v51
	ds_write2_b32 v9, v19, v17 offset1:8
	v_sub_f32_e32 v9, v65, v36
	v_fma_f32 v17, v65, 2.0, -v9
	v_sub_f32_e32 v19, v66, v37
	v_sub_f32_e32 v27, v32, v38
	;; [unrolled: 1-line block ×3, first 2 shown]
	v_fma_f32 v21, v66, 2.0, -v19
	v_fma_f32 v29, v32, 2.0, -v27
	v_fma_f32 v32, v34, 2.0, -v31
	ds_write2_b32 v15, v17, v9 offset1:8
	ds_write2_b32 v11, v21, v19 offset1:8
	ds_write2_b32 v7, v29, v27 offset1:8
	ds_write2_b32 v13, v32, v31 offset1:8
	v_and_b32_e32 v7, 15, v44
	v_lshlrev_b32_e32 v9, 4, v7
	s_waitcnt lgkmcnt(0)
	; wave barrier
	s_waitcnt lgkmcnt(0)
	global_load_dwordx4 v[31:34], v9, s[8:9] offset:112
	v_and_b32_e32 v9, 15, v46
	v_lshlrev_b32_e32 v11, 4, v9
	global_load_dwordx4 v[35:38], v11, s[8:9] offset:112
	v_and_b32_e32 v11, 15, v42
	v_lshlrev_b32_e32 v13, 4, v11
	;; [unrolled: 3-line block ×3, first 2 shown]
	global_load_dwordx4 v[52:55], v15, s[8:9] offset:112
	ds_read2_b32 v[64:65], v23 offset0:136 offset1:192
	ds_read2_b32 v[66:67], v28 offset0:88 offset1:144
	s_waitcnt vmcnt(3) lgkmcnt(1)
	v_mul_f32_e32 v15, v64, v32
	v_mul_f32_e32 v17, v56, v32
	v_fmac_f32_e32 v15, v56, v31
	v_fma_f32 v17, v64, v31, -v17
	s_waitcnt lgkmcnt(0)
	v_mul_f32_e32 v19, v66, v34
	ds_read2_b32 v[31:32], v6 offset0:120 offset1:176
	v_mul_f32_e32 v21, v58, v34
	v_fmac_f32_e32 v19, v58, v33
	v_fma_f32 v21, v66, v33, -v21
	ds_read2_b32 v[33:34], v30 offset0:72 offset1:128
	s_waitcnt vmcnt(2)
	v_mul_f32_e32 v29, v60, v36
	s_waitcnt lgkmcnt(1)
	v_mul_f32_e32 v27, v31, v36
	v_fma_f32 v29, v31, v35, -v29
	v_mul_f32_e32 v31, v62, v38
	v_fmac_f32_e32 v27, v60, v35
	s_waitcnt lgkmcnt(0)
	v_mul_f32_e32 v35, v33, v38
	v_fma_f32 v33, v33, v37, -v31
	s_waitcnt vmcnt(1)
	v_mul_f32_e32 v31, v57, v49
	v_fmac_f32_e32 v35, v62, v37
	v_fma_f32 v37, v65, v48, -v31
	v_mul_f32_e32 v38, v67, v51
	v_mul_f32_e32 v31, v59, v51
	;; [unrolled: 1-line block ×3, first 2 shown]
	v_fmac_f32_e32 v38, v59, v50
	v_fma_f32 v41, v67, v50, -v31
	v_mul_f32_e32 v31, v61, v49
	ds_read_b32 v59, v22
	v_fmac_f32_e32 v36, v57, v48
	v_fma_f32 v57, v32, v48, -v31
	v_mul_f32_e32 v31, v63, v51
	v_mul_f32_e32 v56, v32, v49
	;; [unrolled: 1-line block ×3, first 2 shown]
	v_fma_f32 v34, v34, v50, -v31
	ds_read2_b32 v[31:32], v24 offset0:104 offset1:160
	ds_read_b32 v60, v18
	v_fmac_f32_e32 v56, v61, v48
	s_waitcnt lgkmcnt(2)
	v_mul_f32_e32 v61, v59, v49
	v_mul_f32_e32 v49, v71, v49
	v_fmac_f32_e32 v61, v71, v48
	v_fma_f32 v48, v59, v48, -v49
	s_waitcnt lgkmcnt(1)
	v_mul_f32_e32 v49, v32, v51
	v_fmac_f32_e32 v49, v40, v50
	v_mul_f32_e32 v40, v40, v51
	v_fma_f32 v32, v32, v50, -v40
	s_waitcnt vmcnt(0)
	v_mul_f32_e32 v40, v31, v53
	v_fmac_f32_e32 v40, v39, v52
	v_mul_f32_e32 v39, v39, v53
	v_fmac_f32_e32 v58, v63, v50
	v_fma_f32 v39, v31, v52, -v39
	ds_read_b32 v31, v5 offset:3808
	ds_read_b32 v50, v12
	ds_read_b32 v53, v14
	;; [unrolled: 1-line block ×5, first 2 shown]
	s_waitcnt lgkmcnt(5)
	v_mul_f32_e32 v66, v31, v55
	v_mul_f32_e32 v51, v75, v55
	v_fmac_f32_e32 v66, v75, v54
	v_fma_f32 v54, v31, v54, -v51
	v_add_f32_e32 v51, v61, v49
	v_add_f32_e32 v31, v25, v61
	v_fmac_f32_e32 v25, -0.5, v51
	v_sub_f32_e32 v51, v48, v32
	v_mov_b32_e32 v52, v25
	v_lshrrev_b32_e32 v55, 4, v42
	v_fmac_f32_e32 v52, 0xbf5db3d7, v51
	v_mul_u32_u24_e32 v55, 48, v55
	v_fmac_f32_e32 v25, 0x3f5db3d7, v51
	v_lshrrev_b32_e32 v51, 4, v44
	v_or_b32_e32 v55, v55, v11
	v_mul_lo_u32 v51, v51, 48
	v_add_f32_e32 v31, v31, v49
	v_lshl_add_u32 v55, v55, 2, 0
	s_waitcnt lgkmcnt(0)
	; wave barrier
	s_waitcnt lgkmcnt(0)
	ds_write2_b32 v55, v31, v52 offset1:16
	v_add_f32_e32 v52, v15, v19
	v_add_f32_e32 v31, v74, v15
	v_fmac_f32_e32 v74, -0.5, v52
	ds_write_b32 v55, v25 offset:128
	v_or_b32_e32 v7, v51, v7
	v_add_f32_e32 v25, v31, v19
	v_sub_f32_e32 v31, v17, v21
	v_mov_b32_e32 v51, v74
	v_fmac_f32_e32 v51, 0xbf5db3d7, v31
	v_lshl_add_u32 v67, v7, 2, 0
	ds_write2_b32 v67, v25, v51 offset1:16
	v_add_f32_e32 v25, v36, v38
	v_add_f32_e32 v7, v73, v36
	v_fmac_f32_e32 v73, -0.5, v25
	v_lshrrev_b32_e32 v25, 4, v43
	v_mul_lo_u32 v25, v25, 48
	v_fmac_f32_e32 v74, 0x3f5db3d7, v31
	v_sub_f32_e32 v31, v37, v41
	v_mov_b32_e32 v51, v73
	v_fmac_f32_e32 v51, 0xbf5db3d7, v31
	v_fmac_f32_e32 v73, 0x3f5db3d7, v31
	v_lshrrev_b32_e32 v31, 4, v46
	v_or_b32_e32 v25, v25, v11
	v_mul_lo_u32 v31, v31, 48
	v_add_f32_e32 v7, v7, v38
	v_lshl_add_u32 v25, v25, 2, 0
	ds_write_b32 v67, v74 offset:128
	ds_write2_b32 v25, v7, v51 offset1:16
	v_add_f32_e32 v51, v27, v35
	v_add_f32_e32 v7, v69, v27
	v_fmac_f32_e32 v69, -0.5, v51
	v_or_b32_e32 v9, v31, v9
	v_sub_f32_e32 v31, v29, v33
	v_mov_b32_e32 v51, v69
	v_fmac_f32_e32 v51, 0xbf5db3d7, v31
	v_fmac_f32_e32 v69, 0x3f5db3d7, v31
	v_lshrrev_b32_e32 v31, 4, v47
	v_mul_lo_u32 v31, v31, 48
	v_add_f32_e32 v7, v7, v35
	v_lshl_add_u32 v9, v9, 2, 0
	ds_write_b32 v25, v73 offset:128
	ds_write2_b32 v9, v7, v51 offset1:16
	v_add_f32_e32 v51, v56, v58
	v_add_f32_e32 v7, v70, v56
	v_fmac_f32_e32 v70, -0.5, v51
	v_or_b32_e32 v11, v31, v11
	v_sub_f32_e32 v31, v57, v34
	v_mov_b32_e32 v51, v70
	v_fmac_f32_e32 v51, 0xbf5db3d7, v31
	v_fmac_f32_e32 v70, 0x3f5db3d7, v31
	v_lshrrev_b32_e32 v31, 4, v45
	v_mul_lo_u32 v31, v31, 48
	v_add_f32_e32 v7, v7, v58
	v_lshl_add_u32 v11, v11, 2, 0
	ds_write_b32 v9, v69 offset:128
	ds_write2_b32 v11, v7, v51 offset1:16
	v_add_f32_e32 v51, v40, v66
	v_add_f32_e32 v7, v72, v40
	v_fmac_f32_e32 v72, -0.5, v51
	v_or_b32_e32 v13, v31, v13
	v_sub_f32_e32 v31, v39, v54
	v_mov_b32_e32 v51, v72
	v_fmac_f32_e32 v51, 0xbf5db3d7, v31
	v_add_f32_e32 v7, v7, v66
	v_lshl_add_u32 v13, v13, 2, 0
	ds_write_b32 v11, v70 offset:128
	ds_write2_b32 v13, v7, v51 offset1:16
	v_add_f32_e32 v7, v65, v48
	v_add_f32_e32 v68, v7, v32
	;; [unrolled: 1-line block ×3, first 2 shown]
	v_fmac_f32_e32 v65, -0.5, v7
	v_sub_f32_e32 v61, v61, v49
	v_mov_b32_e32 v69, v65
	v_fmac_f32_e32 v72, 0x3f5db3d7, v31
	v_fmac_f32_e32 v69, 0x3f5db3d7, v61
	v_fmac_f32_e32 v65, 0xbf5db3d7, v61
	ds_write_b32 v13, v72 offset:128
	s_waitcnt lgkmcnt(0)
	; wave barrier
	s_waitcnt lgkmcnt(0)
	ds_read_b32 v79, v5
	ds_read_b32 v7, v12
	;; [unrolled: 1-line block ×7, first 2 shown]
	ds_read_b32 v83, v5 offset:3808
	ds_read2_b32 v[62:63], v24 offset0:104 offset1:160
	ds_read2_b32 v[48:49], v23 offset0:136 offset1:192
	ds_read2_b32 v[51:52], v28 offset0:88 offset1:144
	ds_read2_b32 v[73:74], v6 offset0:120 offset1:176
	ds_read2_b32 v[75:76], v30 offset0:72 offset1:128
	s_waitcnt lgkmcnt(0)
	; wave barrier
	s_waitcnt lgkmcnt(0)
	ds_write2_b32 v55, v68, v69 offset1:16
	ds_write_b32 v55, v65 offset:128
	v_add_f32_e32 v55, v64, v17
	v_add_f32_e32 v17, v17, v21
	v_fmac_f32_e32 v64, -0.5, v17
	v_sub_f32_e32 v15, v15, v19
	v_mov_b32_e32 v17, v64
	v_add_f32_e32 v55, v55, v21
	v_fmac_f32_e32 v17, 0x3f5db3d7, v15
	ds_write2_b32 v67, v55, v17 offset1:16
	v_add_f32_e32 v17, v37, v41
	v_fmac_f32_e32 v64, 0xbf5db3d7, v15
	v_add_f32_e32 v15, v59, v37
	v_fmac_f32_e32 v59, -0.5, v17
	v_sub_f32_e32 v17, v36, v38
	v_mov_b32_e32 v19, v59
	v_add_f32_e32 v15, v15, v41
	v_fmac_f32_e32 v19, 0x3f5db3d7, v17
	v_fmac_f32_e32 v59, 0xbf5db3d7, v17
	v_add_f32_e32 v17, v29, v33
	ds_write_b32 v67, v64 offset:128
	ds_write2_b32 v25, v15, v19 offset1:16
	v_add_f32_e32 v15, v50, v29
	v_fmac_f32_e32 v50, -0.5, v17
	v_sub_f32_e32 v17, v27, v35
	v_mov_b32_e32 v19, v50
	v_add_f32_e32 v21, v57, v34
	v_fmac_f32_e32 v19, 0x3f5db3d7, v17
	v_fmac_f32_e32 v50, 0xbf5db3d7, v17
	v_add_f32_e32 v17, v53, v57
	v_fmac_f32_e32 v53, -0.5, v21
	ds_write_b32 v25, v59 offset:128
	v_sub_f32_e32 v21, v56, v58
	v_mov_b32_e32 v25, v53
	v_add_f32_e32 v27, v39, v54
	v_fmac_f32_e32 v25, 0x3f5db3d7, v21
	v_fmac_f32_e32 v53, 0xbf5db3d7, v21
	v_add_f32_e32 v21, v60, v39
	v_fmac_f32_e32 v60, -0.5, v27
	v_add_f32_e32 v15, v15, v33
	v_sub_f32_e32 v27, v40, v66
	v_mov_b32_e32 v29, v60
	v_add_f32_e32 v17, v17, v34
	v_add_f32_e32 v21, v21, v54
	v_fmac_f32_e32 v29, 0x3f5db3d7, v27
	v_fmac_f32_e32 v60, 0xbf5db3d7, v27
	ds_write2_b32 v9, v15, v19 offset1:16
	ds_write_b32 v9, v50 offset:128
	ds_write2_b32 v11, v17, v25 offset1:16
	ds_write_b32 v11, v53 offset:128
	;; [unrolled: 2-line block ×3, first 2 shown]
	v_mul_lo_u16_sdwa v9, v44, s0 dst_sel:DWORD dst_unused:UNUSED_PAD src0_sel:BYTE_0 src1_sel:DWORD
	v_lshrrev_b16_e32 v9, 13, v9
	v_mul_lo_u16_e32 v11, 48, v9
	v_sub_u16_e32 v11, v44, v11
	v_mov_b32_e32 v13, 4
	v_lshlrev_b32_sdwa v15, v13, v11 dst_sel:DWORD dst_unused:UNUSED_PAD src0_sel:DWORD src1_sel:BYTE_0
	s_waitcnt lgkmcnt(0)
	; wave barrier
	s_waitcnt lgkmcnt(0)
	global_load_dwordx4 v[33:36], v15, s[8:9] offset:368
	v_mul_lo_u16_sdwa v15, v43, s0 dst_sel:DWORD dst_unused:UNUSED_PAD src0_sel:BYTE_0 src1_sel:DWORD
	v_lshrrev_b16_e32 v15, 13, v15
	v_mul_lo_u16_e32 v17, 48, v15
	v_sub_u16_e32 v17, v43, v17
	v_lshlrev_b32_sdwa v19, v13, v17 dst_sel:DWORD dst_unused:UNUSED_PAD src0_sel:DWORD src1_sel:BYTE_0
	global_load_dwordx4 v[37:40], v19, s[8:9] offset:368
	v_mul_lo_u16_sdwa v19, v46, s0 dst_sel:DWORD dst_unused:UNUSED_PAD src0_sel:BYTE_0 src1_sel:DWORD
	v_lshrrev_b16_e32 v84, 13, v19
	v_mul_lo_u16_e32 v19, 48, v84
	v_sub_u16_e32 v85, v46, v19
	v_lshlrev_b32_sdwa v13, v13, v85 dst_sel:DWORD dst_unused:UNUSED_PAD src0_sel:DWORD src1_sel:BYTE_0
	global_load_dwordx4 v[54:57], v13, s[8:9] offset:368
	v_mul_u32_u24_sdwa v13, v47, s6 dst_sel:DWORD dst_unused:UNUSED_PAD src0_sel:WORD_0 src1_sel:DWORD
	v_lshrrev_b32_e32 v13, 21, v13
	v_mul_lo_u16_e32 v19, 48, v13
	v_sub_u16_e32 v86, v47, v19
	v_lshlrev_b32_e32 v19, 4, v86
	global_load_dwordx4 v[58:61], v19, s[8:9] offset:368
	v_subrev_u32_e32 v19, 48, v42
	v_cmp_gt_u32_e64 s[0:1], 48, v42
	v_cndmask_b32_e64 v87, v19, v42, s[0:1]
	v_lshlrev_b32_e32 v46, 1, v87
	v_mov_b32_e32 v47, 0
	v_lshlrev_b64 v[46:47], 3, v[46:47]
	v_mov_b32_e32 v19, s9
	v_add_co_u32_e64 v46, s[0:1], s8, v46
	v_addc_co_u32_e64 v47, s[0:1], v19, v47, s[0:1]
	v_mul_u32_u24_sdwa v19, v45, s6 dst_sel:DWORD dst_unused:UNUSED_PAD src0_sel:WORD_0 src1_sel:DWORD
	global_load_dwordx4 v[65:68], v[46:47], off offset:368
	v_lshrrev_b32_e32 v47, 21, v19
	v_mul_lo_u16_e32 v19, 48, v47
	v_sub_u16_e32 v88, v45, v19
	v_lshlrev_b32_e32 v19, 4, v88
	global_load_dwordx4 v[69:72], v19, s[8:9] offset:368
	ds_read2_b32 v[45:46], v23 offset0:136 offset1:192
	ds_read2_b32 v[77:78], v28 offset0:88 offset1:144
	v_cmp_lt_u32_e64 s[0:1], 47, v42
	v_mul_u32_u24_e32 v9, 0x240, v9
	s_waitcnt vmcnt(5) lgkmcnt(1)
	v_mul_f32_e32 v27, v45, v34
	v_mul_f32_e32 v19, v48, v34
	v_fmac_f32_e32 v27, v48, v33
	v_fma_f32 v50, v45, v33, -v19
	ds_read2_b32 v[33:34], v6 offset0:120 offset1:176
	s_waitcnt lgkmcnt(1)
	v_mul_f32_e32 v45, v77, v36
	v_mul_f32_e32 v19, v51, v36
	v_fmac_f32_e32 v45, v51, v35
	v_fma_f32 v53, v77, v35, -v19
	s_waitcnt vmcnt(4)
	v_mul_f32_e32 v19, v49, v38
	ds_read2_b32 v[35:36], v30 offset0:72 offset1:128
	v_mul_f32_e32 v21, v46, v38
	v_fma_f32 v46, v46, v37, -v19
	v_mul_f32_e32 v29, v78, v40
	v_mul_f32_e32 v19, v52, v40
	v_fmac_f32_e32 v29, v52, v39
	v_fma_f32 v52, v78, v39, -v19
	s_waitcnt vmcnt(3)
	v_mul_f32_e32 v19, v73, v55
	v_fmac_f32_e32 v21, v49, v37
	s_waitcnt lgkmcnt(1)
	v_mul_f32_e32 v25, v33, v55
	v_fma_f32 v49, v33, v54, -v19
	ds_read_b32 v33, v22
	v_mul_f32_e32 v19, v75, v57
	s_waitcnt vmcnt(2)
	v_mul_f32_e32 v28, v74, v59
	v_mul_f32_e32 v22, v76, v61
	s_waitcnt lgkmcnt(1)
	v_mul_f32_e32 v40, v35, v57
	v_fma_f32 v51, v35, v56, -v19
	v_mul_f32_e32 v19, v34, v59
	v_fma_f32 v41, v34, v58, -v28
	;; [unrolled: 2-line block ×3, first 2 shown]
	ds_read2_b32 v[35:36], v24 offset0:104 offset1:160
	ds_read_b32 v34, v18
	s_waitcnt vmcnt(1) lgkmcnt(2)
	v_mul_f32_e32 v64, v33, v66
	v_mul_f32_e32 v18, v80, v66
	v_fmac_f32_e32 v64, v80, v65
	v_fma_f32 v66, v33, v65, -v18
	s_waitcnt lgkmcnt(1)
	v_mul_f32_e32 v65, v36, v68
	v_mul_f32_e32 v18, v63, v68
	v_fmac_f32_e32 v65, v63, v67
	v_fma_f32 v68, v36, v67, -v18
	s_waitcnt vmcnt(0)
	v_mul_f32_e32 v18, v62, v70
	v_fmac_f32_e32 v25, v73, v54
	v_fmac_f32_e32 v40, v75, v56
	v_fmac_f32_e32 v19, v74, v58
	v_mul_f32_e32 v56, v35, v70
	v_fma_f32 v59, v35, v69, -v18
	ds_read_b32 v18, v5 offset:3808
	ds_read_b32 v54, v12
	ds_read_b32 v33, v14
	;; [unrolled: 1-line block ×5, first 2 shown]
	v_mul_f32_e32 v12, v83, v72
	v_add_f32_e32 v14, v64, v65
	v_fmac_f32_e32 v56, v62, v69
	s_waitcnt lgkmcnt(5)
	v_fma_f32 v62, v18, v71, -v12
	v_add_f32_e32 v12, v79, v64
	v_fmac_f32_e32 v79, -0.5, v14
	v_mov_b32_e32 v14, 0x240
	v_cndmask_b32_e64 v14, 0, v14, s[0:1]
	v_lshlrev_b32_e32 v16, 2, v87
	v_add3_u32 v61, 0, v14, v16
	v_sub_f32_e32 v14, v66, v68
	v_mov_b32_e32 v16, v79
	v_add_f32_e32 v12, v12, v65
	v_fmac_f32_e32 v16, 0xbf5db3d7, v14
	v_fmac_f32_e32 v79, 0x3f5db3d7, v14
	v_add_f32_e32 v14, v27, v45
	s_waitcnt lgkmcnt(0)
	; wave barrier
	s_waitcnt lgkmcnt(0)
	ds_write2_b32 v61, v12, v16 offset1:48
	v_add_f32_e32 v12, v82, v27
	v_fmac_f32_e32 v82, -0.5, v14
	v_mov_b32_e32 v14, 2
	v_lshlrev_b32_sdwa v11, v14, v11 dst_sel:DWORD dst_unused:UNUSED_PAD src0_sel:DWORD src1_sel:BYTE_0
	v_add3_u32 v63, 0, v9, v11
	v_add_f32_e32 v9, v12, v45
	v_sub_f32_e32 v11, v50, v53
	v_mov_b32_e32 v12, v82
	v_fmac_f32_e32 v12, 0xbf5db3d7, v11
	v_fmac_f32_e32 v82, 0x3f5db3d7, v11
	v_add_f32_e32 v11, v21, v29
	ds_write_b32 v61, v79 offset:384
	ds_write2_b32 v63, v9, v12 offset1:48
	v_add_f32_e32 v9, v81, v21
	v_fmac_f32_e32 v81, -0.5, v11
	v_mul_u32_u24_e32 v11, 0x240, v15
	v_lshlrev_b32_sdwa v12, v14, v17 dst_sel:DWORD dst_unused:UNUSED_PAD src0_sel:DWORD src1_sel:BYTE_0
	v_add3_u32 v67, 0, v11, v12
	v_sub_f32_e32 v11, v46, v52
	v_mov_b32_e32 v12, v81
	v_fmac_f32_e32 v12, 0xbf5db3d7, v11
	v_add_f32_e32 v9, v9, v29
	v_fmac_f32_e32 v81, 0x3f5db3d7, v11
	v_add_f32_e32 v11, v25, v40
	ds_write_b32 v63, v82 offset:384
	ds_write2_b32 v67, v9, v12 offset1:48
	v_add_f32_e32 v9, v7, v25
	v_fmac_f32_e32 v7, -0.5, v11
	v_lshlrev_b32_sdwa v11, v14, v85 dst_sel:DWORD dst_unused:UNUSED_PAD src0_sel:DWORD src1_sel:BYTE_0
	v_mul_u32_u24_e32 v12, 0x240, v84
	v_fmac_f32_e32 v28, v76, v60
	v_add3_u32 v69, 0, v12, v11
	v_sub_f32_e32 v11, v49, v51
	v_mov_b32_e32 v12, v7
	v_fmac_f32_e32 v12, 0xbf5db3d7, v11
	v_add_f32_e32 v9, v9, v40
	v_fmac_f32_e32 v7, 0x3f5db3d7, v11
	v_add_f32_e32 v11, v19, v28
	ds_write_b32 v67, v81 offset:384
	ds_write2_b32 v69, v9, v12 offset1:48
	v_add_f32_e32 v9, v31, v19
	v_fmac_f32_e32 v31, -0.5, v11
	ds_write_b32 v69, v7 offset:384
	v_mul_u32_u24_e32 v7, 0x240, v13
	v_lshlrev_b32_e32 v11, 2, v86
	v_mul_f32_e32 v60, v18, v72
	v_add3_u32 v70, 0, v7, v11
	v_sub_f32_e32 v7, v41, v22
	v_mov_b32_e32 v11, v31
	v_fmac_f32_e32 v60, v83, v71
	v_fmac_f32_e32 v11, 0xbf5db3d7, v7
	v_add_f32_e32 v9, v9, v28
	ds_write2_b32 v70, v9, v11 offset1:48
	v_add_f32_e32 v9, v56, v60
	v_fmac_f32_e32 v31, 0x3f5db3d7, v7
	v_add_f32_e32 v7, v32, v56
	v_fmac_f32_e32 v32, -0.5, v9
	v_sub_f32_e32 v9, v59, v62
	v_mov_b32_e32 v35, v32
	v_fmac_f32_e32 v35, 0xbf5db3d7, v9
	v_fmac_f32_e32 v32, 0x3f5db3d7, v9
	v_mul_u32_u24_e32 v9, 0x240, v47
	v_lshlrev_b32_e32 v11, 2, v88
	v_add3_u32 v72, 0, v9, v11
	v_sub_u32_e32 v71, 0, v10
	v_add_f32_e32 v36, v7, v60
	ds_write_b32 v70, v31 offset:384
	ds_write2_b32 v72, v36, v35 offset1:48
	ds_write_b32 v72, v32 offset:384
	s_waitcnt lgkmcnt(0)
	; wave barrier
	s_waitcnt lgkmcnt(0)
	v_add_u32_e32 v75, 0x200, v5
	ds_read_b32 v47, v8
	ds_read_b32 v48, v5 offset:3680
	ds_read2_b32 v[7:8], v5 offset1:144
	ds_read2_b32 v[9:10], v75 offset0:72 offset1:160
	ds_read2_b32 v[15:16], v23 offset0:88 offset1:176
	;; [unrolled: 1-line block ×5, first 2 shown]
	v_add_u32_e32 v73, v26, v20
	v_cmp_gt_u32_e64 s[0:1], 32, v42
	v_lshl_add_u32 v74, v42, 2, 0
                                        ; implicit-def: $vgpr37
                                        ; implicit-def: $vgpr38
                                        ; implicit-def: $vgpr39
	s_and_saveexec_b64 s[6:7], s[0:1]
	s_cbranch_execz .LBB0_15
; %bb.14:
	ds_read_b32 v35, v5 offset:1600
	ds_read_b32 v37, v5 offset:2752
	;; [unrolled: 1-line block ×5, first 2 shown]
	ds_read_b32 v31, v73
	ds_read_b32 v38, v5 offset:3904
.LBB0_15:
	s_or_b64 exec, exec, s[6:7]
	v_add_f32_e32 v26, v66, v68
	v_add_f32_e32 v20, v58, v66
	v_fmac_f32_e32 v58, -0.5, v26
	v_sub_f32_e32 v26, v64, v65
	v_mov_b32_e32 v64, v58
	v_fmac_f32_e32 v64, 0x3f5db3d7, v26
	v_fmac_f32_e32 v58, 0xbf5db3d7, v26
	v_add_f32_e32 v26, v57, v50
	v_add_f32_e32 v50, v50, v53
	v_fmac_f32_e32 v57, -0.5, v50
	v_sub_f32_e32 v27, v27, v45
	v_mov_b32_e32 v45, v57
	v_fmac_f32_e32 v45, 0x3f5db3d7, v27
	v_fmac_f32_e32 v57, 0xbf5db3d7, v27
	v_add_f32_e32 v27, v55, v46
	v_add_f32_e32 v46, v46, v52
	v_fmac_f32_e32 v55, -0.5, v46
	v_sub_f32_e32 v21, v21, v29
	v_mov_b32_e32 v29, v55
	v_add_f32_e32 v46, v49, v51
	v_fmac_f32_e32 v29, 0x3f5db3d7, v21
	v_fmac_f32_e32 v55, 0xbf5db3d7, v21
	v_add_f32_e32 v21, v54, v49
	v_fmac_f32_e32 v54, -0.5, v46
	v_sub_f32_e32 v25, v25, v40
	v_mov_b32_e32 v46, v54
	v_fmac_f32_e32 v46, 0x3f5db3d7, v25
	v_fmac_f32_e32 v54, 0xbf5db3d7, v25
	v_add_f32_e32 v25, v33, v41
	v_add_f32_e32 v25, v25, v22
	;; [unrolled: 1-line block ×3, first 2 shown]
	v_fmac_f32_e32 v33, -0.5, v22
	v_sub_f32_e32 v19, v19, v28
	v_mov_b32_e32 v22, v33
	v_fmac_f32_e32 v22, 0x3f5db3d7, v19
	v_fmac_f32_e32 v33, 0xbf5db3d7, v19
	v_add_f32_e32 v19, v34, v59
	v_add_f32_e32 v40, v19, v62
	;; [unrolled: 1-line block ×3, first 2 shown]
	v_fmac_f32_e32 v34, -0.5, v19
	v_add_f32_e32 v20, v20, v68
	v_add_f32_e32 v26, v26, v53
	;; [unrolled: 1-line block ×4, first 2 shown]
	v_sub_f32_e32 v19, v56, v60
	v_mov_b32_e32 v41, v34
	v_fmac_f32_e32 v41, 0x3f5db3d7, v19
	v_fmac_f32_e32 v34, 0xbf5db3d7, v19
	s_waitcnt lgkmcnt(0)
	; wave barrier
	s_waitcnt lgkmcnt(0)
	ds_write2_b32 v61, v20, v64 offset1:48
	ds_write_b32 v61, v58 offset:384
	ds_write2_b32 v63, v26, v45 offset1:48
	ds_write_b32 v63, v57 offset:384
	;; [unrolled: 2-line block ×6, first 2 shown]
	s_waitcnt lgkmcnt(0)
	; wave barrier
	s_waitcnt lgkmcnt(0)
	ds_read2_b32 v[19:20], v5 offset1:144
	ds_read2_b32 v[21:22], v75 offset0:72 offset1:160
	ds_read2_b32 v[27:28], v23 offset0:88 offset1:176
	;; [unrolled: 1-line block ×5, first 2 shown]
	v_add_u32_e32 v0, v0, v71
	ds_read_b32 v49, v0
	ds_read_b32 v50, v5 offset:3680
                                        ; implicit-def: $vgpr0
                                        ; implicit-def: $vgpr45
                                        ; implicit-def: $vgpr46
	s_and_saveexec_b64 s[6:7], s[0:1]
	s_cbranch_execz .LBB0_17
; %bb.16:
	ds_read_b32 v41, v5 offset:1600
	ds_read_b32 v0, v5 offset:2752
	;; [unrolled: 1-line block ×5, first 2 shown]
	ds_read_b32 v33, v73
	ds_read_b32 v45, v5 offset:3904
.LBB0_17:
	s_or_b64 exec, exec, s[6:7]
	s_and_saveexec_b64 s[6:7], vcc
	s_cbranch_execz .LBB0_20
; %bb.18:
	v_mul_i32_i24_e32 v5, 6, v44
	v_mov_b32_e32 v6, 0
	v_lshlrev_b64 v[51:52], 3, v[5:6]
	v_mov_b32_e32 v5, s9
	v_add_co_u32_e32 v63, vcc, s8, v51
	v_addc_co_u32_e32 v64, vcc, v5, v52, vcc
	global_load_dwordx4 v[51:54], v[63:64], off offset:1136
	global_load_dwordx4 v[55:58], v[63:64], off offset:1168
	;; [unrolled: 1-line block ×3, first 2 shown]
	v_mul_u32_u24_e32 v63, 6, v42
	v_lshlrev_b32_e32 v71, 3, v63
	global_load_dwordx4 v[63:66], v71, s[8:9] offset:1168
	global_load_dwordx4 v[67:70], v71, s[8:9] offset:1152
	v_mul_lo_u32 v5, s5, v3
	global_load_dwordx4 v[71:74], v71, s[8:9] offset:1136
	v_mul_lo_u32 v44, s4, v4
	v_mad_u64_u32 v[3:4], s[4:5], s4, v3, 0
	s_mov_b32 s5, 0xbf5ff5aa
	s_mov_b32 s4, 0x3eae86e6
	v_add3_u32 v4, v4, v44, v5
	s_mov_b32 s6, 0xbf3bfb3b
	s_mov_b32 s7, 0x3f3bfb3b
	;; [unrolled: 1-line block ×3, first 2 shown]
	s_movk_i32 s10, 0x90
	v_lshlrev_b64 v[3:4], 3, v[3:4]
	v_lshlrev_b64 v[1:2], 3, v[1:2]
	s_waitcnt vmcnt(5) lgkmcnt(6)
	v_mul_f32_e32 v5, v21, v52
	s_waitcnt vmcnt(4) lgkmcnt(0)
	v_mul_f32_e32 v44, v50, v58
	v_mul_f32_e32 v77, v27, v54
	;; [unrolled: 1-line block ×3, first 2 shown]
	s_waitcnt vmcnt(3)
	v_mul_f32_e32 v75, v23, v62
	v_mul_f32_e32 v76, v25, v60
	;; [unrolled: 1-line block ×5, first 2 shown]
	v_fmac_f32_e32 v5, v9, v51
	v_fmac_f32_e32 v44, v48, v57
	;; [unrolled: 1-line block ×4, first 2 shown]
	v_mul_f32_e32 v58, v48, v58
	v_mul_f32_e32 v60, v13, v60
	;; [unrolled: 1-line block ×3, first 2 shown]
	v_fmac_f32_e32 v75, v11, v61
	v_fmac_f32_e32 v76, v13, v59
	v_fma_f32 v11, v21, v51, -v52
	v_fma_f32 v15, v23, v61, -v62
	;; [unrolled: 1-line block ×3, first 2 shown]
	v_sub_f32_e32 v23, v5, v44
	v_add_f32_e32 v5, v5, v44
	v_add_f32_e32 v53, v77, v78
	v_fma_f32 v9, v50, v57, -v58
	v_fma_f32 v13, v25, v59, -v60
	v_fma_f32 v17, v29, v55, -v56
	v_sub_f32_e32 v25, v75, v76
	v_sub_f32_e32 v27, v77, v78
	v_add_f32_e32 v44, v75, v76
	v_add_f32_e32 v56, v5, v53
	;; [unrolled: 1-line block ×5, first 2 shown]
	v_sub_f32_e32 v9, v11, v9
	v_sub_f32_e32 v11, v15, v13
	;; [unrolled: 1-line block ×4, first 2 shown]
	v_add_f32_e32 v21, v25, v27
	v_sub_f32_e32 v54, v5, v44
	v_sub_f32_e32 v55, v44, v53
	v_add_f32_e32 v44, v44, v56
	v_sub_f32_e32 v15, v23, v25
	v_sub_f32_e32 v50, v48, v51
	;; [unrolled: 3-line block ×3, first 2 shown]
	v_mul_f32_e32 v17, 0x3f08b237, v17
	v_add_f32_e32 v21, v23, v21
	v_add_f32_e32 v47, v47, v44
	;; [unrolled: 1-line block ×3, first 2 shown]
	v_sub_f32_e32 v23, v27, v23
	v_mul_f32_e32 v60, 0x3d64c772, v50
	v_add_f32_e32 v50, v48, v52
	v_mul_f32_e32 v61, 0x3f4a47b2, v54
	v_mul_f32_e32 v55, 0x3d64c772, v55
	;; [unrolled: 1-line block ×3, first 2 shown]
	v_mov_b32_e32 v62, v17
	v_mov_b32_e32 v58, v47
	v_add_f32_e32 v11, v9, v11
	v_mul_f32_e32 v27, 0xbf5ff5aa, v23
	v_sub_f32_e32 v5, v53, v5
	v_sub_f32_e32 v9, v13, v9
	;; [unrolled: 1-line block ×3, first 2 shown]
	v_mov_b32_e32 v52, v60
	v_add_f32_e32 v48, v49, v50
	v_fmac_f32_e32 v62, 0xbeae86e6, v15
	v_fmac_f32_e32 v58, 0xbf955555, v44
	v_fma_f32 v15, v15, s4, -v27
	v_sub_f32_e32 v27, v51, v29
	v_fma_f32 v51, v5, s6, -v61
	v_mul_f32_e32 v13, 0xbf5ff5aa, v9
	v_fma_f32 v9, v9, s5, -v56
	v_fma_f32 v5, v5, s7, -v55
	v_mul_f32_e32 v59, 0x3f4a47b2, v25
	v_fmac_f32_e32 v52, 0x3f4a47b2, v25
	v_mov_b32_e32 v25, v48
	v_fmac_f32_e32 v9, 0xbee1c552, v11
	v_add_f32_e32 v5, v5, v58
	v_mov_b32_e32 v49, v55
	v_fmac_f32_e32 v25, 0xbf955555, v50
	v_fma_f32 v29, v27, s6, -v59
	v_fma_f32 v13, v57, s4, -v13
	;; [unrolled: 1-line block ×4, first 2 shown]
	v_add_f32_e32 v53, v9, v5
	v_sub_f32_e32 v55, v5, v9
	s_waitcnt vmcnt(0)
	v_mul_f32_e32 v5, v20, v72
	v_mov_b32_e32 v75, v56
	v_fmac_f32_e32 v49, 0x3f4a47b2, v54
	v_add_f32_e32 v44, v52, v25
	v_fmac_f32_e32 v15, 0xbee1c552, v21
	v_add_f32_e32 v29, v29, v25
	v_add_f32_e32 v59, v51, v58
	v_fmac_f32_e32 v13, 0xbee1c552, v11
	v_add_f32_e32 v25, v27, v25
	v_fmac_f32_e32 v17, 0xbee1c552, v21
	v_fmac_f32_e32 v5, v8, v71
	v_mul_f32_e32 v8, v8, v72
	v_add_f32_e32 v76, v49, v58
	v_fmac_f32_e32 v75, 0xbeae86e6, v57
	v_add_f32_e32 v52, v15, v29
	v_sub_f32_e32 v51, v59, v13
	v_sub_f32_e32 v54, v25, v17
	v_add_f32_e32 v56, v17, v25
	v_sub_f32_e32 v58, v29, v15
	v_add_f32_e32 v57, v13, v59
	v_mul_f32_e32 v9, v30, v66
	v_mul_f32_e32 v13, v26, v70
	;; [unrolled: 1-line block ×5, first 2 shown]
	v_fma_f32 v20, v20, v71, -v8
	v_mul_f32_e32 v8, v16, v68
	v_fmac_f32_e32 v9, v18, v65
	v_fmac_f32_e32 v13, v14, v69
	;; [unrolled: 1-line block ×5, first 2 shown]
	v_fma_f32 v16, v28, v67, -v8
	v_mul_f32_e32 v8, v14, v70
	v_mul_f32_e32 v12, v12, v64
	;; [unrolled: 1-line block ×3, first 2 shown]
	v_fmac_f32_e32 v75, 0xbee1c552, v11
	v_sub_f32_e32 v11, v5, v9
	v_sub_f32_e32 v27, v23, v25
	v_fma_f32 v14, v26, v69, -v8
	v_fma_f32 v12, v24, v63, -v12
	;; [unrolled: 1-line block ×3, first 2 shown]
	v_add_f32_e32 v5, v5, v9
	v_add_f32_e32 v9, v13, v15
	;; [unrolled: 1-line block ×3, first 2 shown]
	v_mul_f32_e32 v18, v18, v66
	v_add_f32_e32 v8, v14, v16
	v_add_f32_e32 v24, v22, v12
	v_sub_f32_e32 v25, v9, v23
	v_fmac_f32_e32 v62, 0xbee1c552, v21
	v_fma_f32 v18, v30, v65, -v18
	v_sub_f32_e32 v10, v8, v24
	v_mul_f32_e32 v25, 0x3d64c772, v25
	v_add_f32_e32 v50, v62, v44
	v_sub_f32_e32 v60, v44, v62
	v_sub_f32_e32 v17, v13, v15
	v_add_f32_e32 v30, v20, v18
	v_mul_f32_e32 v61, 0x3d64c772, v10
	v_sub_f32_e32 v13, v5, v9
	v_mov_b32_e32 v62, v25
	v_sub_f32_e32 v26, v30, v8
	v_mov_b32_e32 v10, v61
	v_mul_f32_e32 v15, 0x3f4a47b2, v13
	v_fmac_f32_e32 v62, 0x3f4a47b2, v13
	v_add_f32_e32 v13, v5, v23
	v_mul_f32_e32 v28, 0x3f4a47b2, v26
	v_fmac_f32_e32 v10, 0x3f4a47b2, v26
	v_add_f32_e32 v26, v30, v24
	v_add_f32_e32 v9, v9, v13
	v_sub_f32_e32 v29, v17, v27
	v_add_f32_e32 v26, v8, v26
	v_add_f32_e32 v7, v7, v9
	v_sub_f32_e32 v21, v11, v17
	v_mul_f32_e32 v29, 0x3f08b237, v29
	v_add_f32_e32 v17, v17, v27
	v_add_f32_e32 v8, v19, v26
	v_mov_b32_e32 v13, v7
	v_sub_f32_e32 v27, v27, v11
	v_mov_b32_e32 v44, v29
	v_add_f32_e32 v17, v11, v17
	v_mov_b32_e32 v19, v8
	v_fmac_f32_e32 v13, 0xbf955555, v9
	v_sub_f32_e32 v9, v14, v16
	v_sub_f32_e32 v16, v22, v12
	v_mul_f32_e32 v11, 0xbf5ff5aa, v27
	v_sub_f32_e32 v24, v24, v30
	v_fmac_f32_e32 v44, 0xbeae86e6, v21
	v_fmac_f32_e32 v19, 0xbf955555, v26
	v_sub_f32_e32 v18, v20, v18
	v_sub_f32_e32 v12, v9, v16
	v_fma_f32 v21, v21, s4, -v11
	v_fma_f32 v11, v24, s6, -v28
	v_sub_f32_e32 v5, v23, v5
	v_sub_f32_e32 v14, v18, v9
	v_mul_f32_e32 v20, 0x3f08b237, v12
	v_add_f32_e32 v9, v9, v16
	v_add_f32_e32 v28, v11, v19
	v_fma_f32 v11, v5, s6, -v15
	v_sub_f32_e32 v15, v16, v18
	v_mul_hi_u32 v16, v42, s11
	v_mov_b32_e32 v63, v20
	v_add_f32_e32 v23, v11, v13
	v_mul_f32_e32 v11, 0xbf5ff5aa, v15
	v_fmac_f32_e32 v63, 0xbeae86e6, v14
	v_fma_f32 v30, v14, s4, -v11
	v_fma_f32 v14, v24, s7, -v61
	v_add_f32_e32 v26, v10, v19
	v_add_f32_e32 v22, v18, v9
	;; [unrolled: 1-line block ×3, first 2 shown]
	v_fma_f32 v19, v27, s5, -v29
	v_fmac_f32_e32 v44, 0xbee1c552, v17
	v_fmac_f32_e32 v21, 0xbee1c552, v17
	v_fmac_f32_e32 v19, 0xbee1c552, v17
	v_fma_f32 v17, v15, s5, -v20
	v_lshrrev_b32_e32 v15, 5, v16
	v_mul_lo_u32 v15, v15, s10
	v_fma_f32 v5, v5, s7, -v25
	v_fmac_f32_e32 v17, 0xbee1c552, v22
	v_add_f32_e32 v5, v5, v13
	v_sub_u32_e32 v27, v42, v15
	v_mad_u64_u32 v[15:16], s[12:13], s2, v27, 0
	v_add_f32_e32 v62, v62, v13
	v_add_f32_e32 v13, v17, v5
	v_sub_f32_e32 v17, v5, v17
	v_mov_b32_e32 v5, v16
	v_fmac_f32_e32 v63, 0xbee1c552, v22
	v_add_f32_e32 v12, v21, v28
	v_fmac_f32_e32 v30, 0xbee1c552, v22
	v_sub_f32_e32 v20, v28, v21
	v_mad_u64_u32 v[21:22], s[12:13], s3, v27, v[5:6]
	v_mov_b32_e32 v5, s15
	v_add_u32_e32 v24, 0x90, v27
	v_mov_b32_e32 v16, v21
	v_add_co_u32_e32 v21, vcc, s14, v3
	v_addc_co_u32_e32 v5, vcc, v5, v4, vcc
	v_add_co_u32_e32 v1, vcc, v21, v1
	v_lshlrev_b64 v[15:16], 3, v[15:16]
	v_addc_co_u32_e32 v2, vcc, v5, v2, vcc
	v_add_co_u32_e32 v15, vcc, v1, v15
	v_addc_co_u32_e32 v16, vcc, v2, v16, vcc
	v_mad_u64_u32 v[3:4], s[12:13], s2, v24, 0
	global_store_dwordx2 v[15:16], v[7:8], off
	v_add_u32_e32 v15, 0x120, v27
	v_mad_u64_u32 v[7:8], s[12:13], s2, v15, 0
	v_mad_u64_u32 v[4:5], s[12:13], s3, v24, v[4:5]
	v_mov_b32_e32 v5, v8
	v_mad_u64_u32 v[15:16], s[12:13], s3, v15, v[5:6]
	v_add_u32_e32 v16, 0x1b0, v27
	v_mad_u64_u32 v[24:25], s[12:13], s2, v16, 0
	v_lshlrev_b64 v[3:4], 3, v[3:4]
	v_sub_f32_e32 v11, v23, v30
	v_add_co_u32_e32 v3, vcc, v1, v3
	v_sub_f32_e32 v14, v18, v19
	v_add_f32_e32 v18, v19, v18
	v_add_f32_e32 v19, v30, v23
	v_sub_f32_e32 v23, v26, v44
	v_add_f32_e32 v22, v63, v62
	v_addc_co_u32_e32 v4, vcc, v2, v4, vcc
	v_mov_b32_e32 v8, v15
	v_mov_b32_e32 v5, v25
	global_store_dwordx2 v[3:4], v[22:23], off
	v_lshlrev_b64 v[3:4], 3, v[7:8]
	v_mad_u64_u32 v[7:8], s[12:13], s3, v16, v[5:6]
	v_add_u32_e32 v15, 0x240, v27
	v_add_co_u32_e32 v3, vcc, v1, v3
	v_mov_b32_e32 v25, v7
	v_mad_u64_u32 v[7:8], s[12:13], s2, v15, 0
	v_addc_co_u32_e32 v4, vcc, v2, v4, vcc
	v_mov_b32_e32 v5, v8
	v_mad_u64_u32 v[15:16], s[12:13], s3, v15, v[5:6]
	global_store_dwordx2 v[3:4], v[19:20], off
	v_lshlrev_b64 v[3:4], 3, v[24:25]
	v_add_u32_e32 v16, 0x2d0, v27
	v_add_co_u32_e32 v3, vcc, v1, v3
	v_addc_co_u32_e32 v4, vcc, v2, v4, vcc
	v_mov_b32_e32 v8, v15
	v_mad_u64_u32 v[19:20], s[12:13], s2, v16, 0
	global_store_dwordx2 v[3:4], v[17:18], off
	v_lshlrev_b64 v[3:4], 3, v[7:8]
	v_mov_b32_e32 v5, v20
	v_add_co_u32_e32 v3, vcc, v1, v3
	v_addc_co_u32_e32 v4, vcc, v2, v4, vcc
	global_store_dwordx2 v[3:4], v[13:14], off
	v_add_u32_e32 v13, 56, v42
	v_mad_u64_u32 v[7:8], s[12:13], s3, v16, v[5:6]
	v_mul_hi_u32 v5, v13, s11
	v_add_u32_e32 v15, 0x360, v27
	v_mov_b32_e32 v20, v7
	v_mad_u64_u32 v[7:8], s[12:13], s2, v15, 0
	v_lshrrev_b32_e32 v14, 5, v5
	v_mul_lo_u32 v16, v14, s10
	v_sub_f32_e32 v9, v62, v63
	v_mov_b32_e32 v5, v8
	s_movk_i32 s11, 0x3f0
	v_sub_u32_e32 v8, v13, v16
	v_mad_u64_u32 v[13:14], s[12:13], v14, s11, v[8:9]
	v_mad_u64_u32 v[14:15], s[12:13], s3, v15, v[5:6]
	v_lshlrev_b64 v[3:4], 3, v[19:20]
	v_mad_u64_u32 v[15:16], s[12:13], s2, v13, 0
	v_add_co_u32_e32 v3, vcc, v1, v3
	v_addc_co_u32_e32 v4, vcc, v2, v4, vcc
	v_mov_b32_e32 v8, v14
	global_store_dwordx2 v[3:4], v[11:12], off
	v_lshlrev_b64 v[3:4], 3, v[7:8]
	v_mov_b32_e32 v5, v16
	v_mad_u64_u32 v[7:8], s[12:13], s3, v13, v[5:6]
	v_add_co_u32_e32 v3, vcc, v1, v3
	v_add_f32_e32 v10, v44, v26
	v_addc_co_u32_e32 v4, vcc, v2, v4, vcc
	global_store_dwordx2 v[3:4], v[9:10], off
	v_add_u32_e32 v9, 0x90, v13
	v_mov_b32_e32 v16, v7
	v_mad_u64_u32 v[7:8], s[12:13], s2, v9, 0
	v_add_u32_e32 v11, 0x120, v13
	v_lshlrev_b64 v[3:4], 3, v[15:16]
	v_mov_b32_e32 v5, v8
	v_mad_u64_u32 v[8:9], s[12:13], s3, v9, v[5:6]
	v_mad_u64_u32 v[9:10], s[12:13], s2, v11, 0
	v_add_co_u32_e32 v3, vcc, v1, v3
	v_addc_co_u32_e32 v4, vcc, v2, v4, vcc
	v_mov_b32_e32 v5, v10
	global_store_dwordx2 v[3:4], v[47:48], off
	v_lshlrev_b64 v[3:4], 3, v[7:8]
	v_mad_u64_u32 v[7:8], s[12:13], s3, v11, v[5:6]
	v_add_co_u32_e32 v3, vcc, v1, v3
	v_add_f32_e32 v59, v75, v76
	v_addc_co_u32_e32 v4, vcc, v2, v4, vcc
	v_mov_b32_e32 v10, v7
	global_store_dwordx2 v[3:4], v[59:60], off
	v_lshlrev_b64 v[3:4], 3, v[9:10]
	v_add_u32_e32 v9, 0x1b0, v13
	v_mad_u64_u32 v[7:8], s[12:13], s2, v9, 0
	v_add_u32_e32 v11, 0x240, v13
	v_add_co_u32_e32 v3, vcc, v1, v3
	v_mov_b32_e32 v5, v8
	v_mad_u64_u32 v[8:9], s[12:13], s3, v9, v[5:6]
	v_mad_u64_u32 v[9:10], s[12:13], s2, v11, 0
	v_addc_co_u32_e32 v4, vcc, v2, v4, vcc
	v_mov_b32_e32 v5, v10
	global_store_dwordx2 v[3:4], v[57:58], off
	v_lshlrev_b64 v[3:4], 3, v[7:8]
	v_mad_u64_u32 v[7:8], s[12:13], s3, v11, v[5:6]
	v_add_co_u32_e32 v3, vcc, v1, v3
	v_addc_co_u32_e32 v4, vcc, v2, v4, vcc
	v_mov_b32_e32 v10, v7
	global_store_dwordx2 v[3:4], v[55:56], off
	v_lshlrev_b64 v[3:4], 3, v[9:10]
	v_add_u32_e32 v9, 0x2d0, v13
	v_mad_u64_u32 v[7:8], s[12:13], s2, v9, 0
	v_add_u32_e32 v11, 0x360, v13
	v_add_co_u32_e32 v3, vcc, v1, v3
	v_mov_b32_e32 v5, v8
	v_mad_u64_u32 v[8:9], s[12:13], s3, v9, v[5:6]
	v_mad_u64_u32 v[9:10], s[12:13], s2, v11, 0
	v_addc_co_u32_e32 v4, vcc, v2, v4, vcc
	v_mov_b32_e32 v5, v10
	global_store_dwordx2 v[3:4], v[53:54], off
	v_lshlrev_b64 v[3:4], 3, v[7:8]
	v_mad_u64_u32 v[7:8], s[12:13], s3, v11, v[5:6]
	v_add_co_u32_e32 v3, vcc, v1, v3
	v_addc_co_u32_e32 v4, vcc, v2, v4, vcc
	v_mov_b32_e32 v10, v7
	global_store_dwordx2 v[3:4], v[51:52], off
	v_lshlrev_b64 v[3:4], 3, v[9:10]
	v_sub_f32_e32 v49, v76, v75
	v_add_co_u32_e32 v3, vcc, v1, v3
	v_addc_co_u32_e32 v4, vcc, v2, v4, vcc
	global_store_dwordx2 v[3:4], v[49:50], off
	v_add_u32_e32 v3, 0x70, v42
	v_cmp_gt_u32_e32 vcc, s10, v3
	s_and_b64 exec, exec, vcc
	s_cbranch_execz .LBB0_20
; %bb.19:
	v_subrev_u32_e32 v4, 32, v42
	v_cndmask_b32_e64 v4, v4, v43, s[0:1]
	v_mul_i32_i24_e32 v5, 6, v4
	v_lshlrev_b64 v[4:5], 3, v[5:6]
	v_mov_b32_e32 v6, s9
	v_add_co_u32_e32 v16, vcc, s8, v4
	v_addc_co_u32_e32 v17, vcc, v6, v5, vcc
	global_load_dwordx4 v[4:7], v[16:17], off offset:1136
	global_load_dwordx4 v[8:11], v[16:17], off offset:1152
	;; [unrolled: 1-line block ×3, first 2 shown]
	s_waitcnt vmcnt(2)
	v_mul_f32_e32 v16, v40, v5
	v_mul_f32_e32 v5, v36, v5
	;; [unrolled: 1-line block ×4, first 2 shown]
	s_waitcnt vmcnt(1)
	v_mul_f32_e32 v18, v34, v9
	v_mul_f32_e32 v9, v32, v9
	s_waitcnt vmcnt(0)
	v_mul_f32_e32 v20, v46, v13
	v_mul_f32_e32 v13, v39, v13
	;; [unrolled: 1-line block ×6, first 2 shown]
	v_fmac_f32_e32 v16, v36, v4
	v_fma_f32 v4, v40, v4, -v5
	v_fmac_f32_e32 v17, v35, v6
	v_fma_f32 v5, v41, v6, -v7
	;; [unrolled: 2-line block ×6, first 2 shown]
	v_add_f32_e32 v9, v16, v21
	v_add_f32_e32 v10, v4, v8
	v_sub_f32_e32 v4, v4, v8
	v_add_f32_e32 v8, v17, v20
	v_add_f32_e32 v12, v5, v7
	v_sub_f32_e32 v11, v16, v21
	v_sub_f32_e32 v13, v17, v20
	;; [unrolled: 1-line block ×3, first 2 shown]
	v_add_f32_e32 v7, v18, v19
	v_add_f32_e32 v14, v6, v0
	v_sub_f32_e32 v15, v19, v18
	v_sub_f32_e32 v0, v0, v6
	v_add_f32_e32 v6, v8, v9
	v_add_f32_e32 v16, v12, v10
	v_sub_f32_e32 v17, v8, v9
	v_sub_f32_e32 v18, v12, v10
	;; [unrolled: 1-line block ×6, first 2 shown]
	v_add_f32_e32 v19, v15, v13
	v_add_f32_e32 v20, v0, v5
	v_sub_f32_e32 v21, v15, v13
	v_add_f32_e32 v6, v7, v6
	v_add_f32_e32 v7, v14, v16
	v_sub_f32_e32 v22, v0, v5
	v_sub_f32_e32 v15, v11, v15
	;; [unrolled: 1-line block ×5, first 2 shown]
	v_add_f32_e32 v11, v19, v11
	v_add_f32_e32 v14, v20, v4
	v_mul_f32_e32 v9, 0x3f4a47b2, v9
	v_mul_f32_e32 v10, 0x3f4a47b2, v10
	;; [unrolled: 1-line block ×5, first 2 shown]
	v_add_f32_e32 v4, v31, v6
	v_add_f32_e32 v5, v33, v7
	v_mul_f32_e32 v21, 0x3f08b237, v22
	v_mul_f32_e32 v22, 0xbf5ff5aa, v13
	v_fma_f32 v16, v17, s7, -v16
	v_fma_f32 v19, v18, s7, -v19
	;; [unrolled: 1-line block ×3, first 2 shown]
	v_fmac_f32_e32 v9, 0x3d64c772, v8
	v_fma_f32 v8, v18, s6, -v10
	v_fmac_f32_e32 v10, 0x3d64c772, v12
	v_fma_f32 v18, v13, s5, -v20
	v_mov_b32_e32 v12, v4
	v_mov_b32_e32 v13, v5
	v_mul_f32_e32 v24, 0xbf5ff5aa, v23
	v_fmac_f32_e32 v12, 0xbf955555, v6
	v_fmac_f32_e32 v13, 0xbf955555, v7
	;; [unrolled: 1-line block ×3, first 2 shown]
	v_fma_f32 v23, v23, s5, -v21
	v_fmac_f32_e32 v21, 0xbeae86e6, v0
	v_fma_f32 v22, v15, s4, -v22
	v_fma_f32 v0, v0, s4, -v24
	v_add_f32_e32 v24, v9, v12
	v_add_f32_e32 v25, v10, v13
	;; [unrolled: 1-line block ×6, first 2 shown]
	v_mad_u64_u32 v[12:13], s[0:1], s2, v3, 0
	v_fmac_f32_e32 v18, 0xbee1c552, v11
	v_fmac_f32_e32 v23, 0xbee1c552, v14
	;; [unrolled: 1-line block ×6, first 2 shown]
	v_add_f32_e32 v8, v0, v17
	v_sub_f32_e32 v10, v15, v23
	v_add_f32_e32 v11, v18, v16
	v_add_f32_e32 v14, v23, v15
	v_sub_f32_e32 v15, v16, v18
	v_sub_f32_e32 v16, v17, v0
	v_mov_b32_e32 v0, v13
	v_mad_u64_u32 v[18:19], s[0:1], s3, v3, v[0:1]
	v_add_u32_e32 v3, 0x100, v42
	v_add_f32_e32 v6, v21, v24
	v_sub_f32_e32 v9, v26, v22
	v_add_f32_e32 v17, v22, v26
	v_sub_f32_e32 v19, v24, v21
	v_mad_u64_u32 v[21:22], s[0:1], s2, v3, 0
	v_mov_b32_e32 v13, v18
	v_lshlrev_b64 v[12:13], 3, v[12:13]
	v_mov_b32_e32 v0, v22
	v_mad_u64_u32 v[22:23], s[0:1], s3, v3, v[0:1]
	v_add_co_u32_e32 v12, vcc, v1, v12
	v_addc_co_u32_e32 v13, vcc, v2, v13, vcc
	global_store_dwordx2 v[12:13], v[4:5], off
	v_lshlrev_b64 v[3:4], 3, v[21:22]
	v_add_u32_e32 v18, 0x190, v42
	v_add_co_u32_e32 v3, vcc, v1, v3
	v_sub_f32_e32 v7, v25, v20
	v_mad_u64_u32 v[23:24], s[0:1], s2, v18, 0
	v_addc_co_u32_e32 v4, vcc, v2, v4, vcc
	global_store_dwordx2 v[3:4], v[6:7], off
	v_add_u32_e32 v7, 0x220, v42
	v_mad_u64_u32 v[5:6], s[0:1], s2, v7, 0
	v_mov_b32_e32 v0, v24
	v_mad_u64_u32 v[12:13], s[0:1], s3, v18, v[0:1]
	v_mov_b32_e32 v0, v6
	v_mad_u64_u32 v[6:7], s[0:1], s3, v7, v[0:1]
	v_add_u32_e32 v7, 0x2b0, v42
	v_mov_b32_e32 v24, v12
	v_mad_u64_u32 v[12:13], s[0:1], s2, v7, 0
	v_lshlrev_b64 v[3:4], 3, v[23:24]
	v_add_f32_e32 v20, v20, v25
	v_add_co_u32_e32 v3, vcc, v1, v3
	v_addc_co_u32_e32 v4, vcc, v2, v4, vcc
	v_mov_b32_e32 v0, v13
	global_store_dwordx2 v[3:4], v[8:9], off
	v_lshlrev_b64 v[3:4], 3, v[5:6]
	v_mad_u64_u32 v[5:6], s[0:1], s3, v7, v[0:1]
	v_add_u32_e32 v7, 0x340, v42
	v_add_co_u32_e32 v3, vcc, v1, v3
	v_mov_b32_e32 v13, v5
	v_mad_u64_u32 v[5:6], s[0:1], s2, v7, 0
	v_add_u32_e32 v9, 0x3d0, v42
	v_addc_co_u32_e32 v4, vcc, v2, v4, vcc
	v_mov_b32_e32 v0, v6
	v_mad_u64_u32 v[6:7], s[0:1], s3, v7, v[0:1]
	v_mad_u64_u32 v[7:8], s[0:1], s2, v9, 0
	global_store_dwordx2 v[3:4], v[10:11], off
	v_lshlrev_b64 v[3:4], 3, v[12:13]
	v_mov_b32_e32 v0, v8
	v_add_co_u32_e32 v3, vcc, v1, v3
	v_addc_co_u32_e32 v4, vcc, v2, v4, vcc
	global_store_dwordx2 v[3:4], v[14:15], off
	v_lshlrev_b64 v[3:4], 3, v[5:6]
	v_mad_u64_u32 v[5:6], s[0:1], s3, v9, v[0:1]
	v_add_co_u32_e32 v3, vcc, v1, v3
	v_addc_co_u32_e32 v4, vcc, v2, v4, vcc
	v_mov_b32_e32 v8, v5
	global_store_dwordx2 v[3:4], v[16:17], off
	v_lshlrev_b64 v[3:4], 3, v[7:8]
	v_add_co_u32_e32 v0, vcc, v1, v3
	v_addc_co_u32_e32 v1, vcc, v2, v4, vcc
	global_store_dwordx2 v[0:1], v[19:20], off
.LBB0_20:
	s_endpgm
	.section	.rodata,"a",@progbits
	.p2align	6, 0x0
	.amdhsa_kernel fft_rtc_back_len1008_factors_2_2_2_2_3_3_7_wgs_56_tpt_56_halfLds_sp_op_CI_CI_sbrr_dirReg
		.amdhsa_group_segment_fixed_size 0
		.amdhsa_private_segment_fixed_size 0
		.amdhsa_kernarg_size 104
		.amdhsa_user_sgpr_count 6
		.amdhsa_user_sgpr_private_segment_buffer 1
		.amdhsa_user_sgpr_dispatch_ptr 0
		.amdhsa_user_sgpr_queue_ptr 0
		.amdhsa_user_sgpr_kernarg_segment_ptr 1
		.amdhsa_user_sgpr_dispatch_id 0
		.amdhsa_user_sgpr_flat_scratch_init 0
		.amdhsa_user_sgpr_private_segment_size 0
		.amdhsa_uses_dynamic_stack 0
		.amdhsa_system_sgpr_private_segment_wavefront_offset 0
		.amdhsa_system_sgpr_workgroup_id_x 1
		.amdhsa_system_sgpr_workgroup_id_y 0
		.amdhsa_system_sgpr_workgroup_id_z 0
		.amdhsa_system_sgpr_workgroup_info 0
		.amdhsa_system_vgpr_workitem_id 0
		.amdhsa_next_free_vgpr 89
		.amdhsa_next_free_sgpr 32
		.amdhsa_reserve_vcc 1
		.amdhsa_reserve_flat_scratch 0
		.amdhsa_float_round_mode_32 0
		.amdhsa_float_round_mode_16_64 0
		.amdhsa_float_denorm_mode_32 3
		.amdhsa_float_denorm_mode_16_64 3
		.amdhsa_dx10_clamp 1
		.amdhsa_ieee_mode 1
		.amdhsa_fp16_overflow 0
		.amdhsa_exception_fp_ieee_invalid_op 0
		.amdhsa_exception_fp_denorm_src 0
		.amdhsa_exception_fp_ieee_div_zero 0
		.amdhsa_exception_fp_ieee_overflow 0
		.amdhsa_exception_fp_ieee_underflow 0
		.amdhsa_exception_fp_ieee_inexact 0
		.amdhsa_exception_int_div_zero 0
	.end_amdhsa_kernel
	.text
.Lfunc_end0:
	.size	fft_rtc_back_len1008_factors_2_2_2_2_3_3_7_wgs_56_tpt_56_halfLds_sp_op_CI_CI_sbrr_dirReg, .Lfunc_end0-fft_rtc_back_len1008_factors_2_2_2_2_3_3_7_wgs_56_tpt_56_halfLds_sp_op_CI_CI_sbrr_dirReg
                                        ; -- End function
	.section	.AMDGPU.csdata,"",@progbits
; Kernel info:
; codeLenInByte = 12700
; NumSgprs: 36
; NumVgprs: 89
; ScratchSize: 0
; MemoryBound: 0
; FloatMode: 240
; IeeeMode: 1
; LDSByteSize: 0 bytes/workgroup (compile time only)
; SGPRBlocks: 4
; VGPRBlocks: 22
; NumSGPRsForWavesPerEU: 36
; NumVGPRsForWavesPerEU: 89
; Occupancy: 2
; WaveLimiterHint : 1
; COMPUTE_PGM_RSRC2:SCRATCH_EN: 0
; COMPUTE_PGM_RSRC2:USER_SGPR: 6
; COMPUTE_PGM_RSRC2:TRAP_HANDLER: 0
; COMPUTE_PGM_RSRC2:TGID_X_EN: 1
; COMPUTE_PGM_RSRC2:TGID_Y_EN: 0
; COMPUTE_PGM_RSRC2:TGID_Z_EN: 0
; COMPUTE_PGM_RSRC2:TIDIG_COMP_CNT: 0
	.type	__hip_cuid_a2c33ded7d842b9f,@object ; @__hip_cuid_a2c33ded7d842b9f
	.section	.bss,"aw",@nobits
	.globl	__hip_cuid_a2c33ded7d842b9f
__hip_cuid_a2c33ded7d842b9f:
	.byte	0                               ; 0x0
	.size	__hip_cuid_a2c33ded7d842b9f, 1

	.ident	"AMD clang version 19.0.0git (https://github.com/RadeonOpenCompute/llvm-project roc-6.4.0 25133 c7fe45cf4b819c5991fe208aaa96edf142730f1d)"
	.section	".note.GNU-stack","",@progbits
	.addrsig
	.addrsig_sym __hip_cuid_a2c33ded7d842b9f
	.amdgpu_metadata
---
amdhsa.kernels:
  - .args:
      - .actual_access:  read_only
        .address_space:  global
        .offset:         0
        .size:           8
        .value_kind:     global_buffer
      - .offset:         8
        .size:           8
        .value_kind:     by_value
      - .actual_access:  read_only
        .address_space:  global
        .offset:         16
        .size:           8
        .value_kind:     global_buffer
      - .actual_access:  read_only
        .address_space:  global
        .offset:         24
        .size:           8
        .value_kind:     global_buffer
      - .actual_access:  read_only
        .address_space:  global
        .offset:         32
        .size:           8
        .value_kind:     global_buffer
      - .offset:         40
        .size:           8
        .value_kind:     by_value
      - .actual_access:  read_only
        .address_space:  global
        .offset:         48
        .size:           8
        .value_kind:     global_buffer
      - .actual_access:  read_only
        .address_space:  global
        .offset:         56
        .size:           8
        .value_kind:     global_buffer
      - .offset:         64
        .size:           4
        .value_kind:     by_value
      - .actual_access:  read_only
        .address_space:  global
        .offset:         72
        .size:           8
        .value_kind:     global_buffer
      - .actual_access:  read_only
        .address_space:  global
        .offset:         80
        .size:           8
        .value_kind:     global_buffer
      - .actual_access:  read_only
        .address_space:  global
        .offset:         88
        .size:           8
        .value_kind:     global_buffer
      - .actual_access:  write_only
        .address_space:  global
        .offset:         96
        .size:           8
        .value_kind:     global_buffer
    .group_segment_fixed_size: 0
    .kernarg_segment_align: 8
    .kernarg_segment_size: 104
    .language:       OpenCL C
    .language_version:
      - 2
      - 0
    .max_flat_workgroup_size: 56
    .name:           fft_rtc_back_len1008_factors_2_2_2_2_3_3_7_wgs_56_tpt_56_halfLds_sp_op_CI_CI_sbrr_dirReg
    .private_segment_fixed_size: 0
    .sgpr_count:     36
    .sgpr_spill_count: 0
    .symbol:         fft_rtc_back_len1008_factors_2_2_2_2_3_3_7_wgs_56_tpt_56_halfLds_sp_op_CI_CI_sbrr_dirReg.kd
    .uniform_work_group_size: 1
    .uses_dynamic_stack: false
    .vgpr_count:     89
    .vgpr_spill_count: 0
    .wavefront_size: 64
amdhsa.target:   amdgcn-amd-amdhsa--gfx906
amdhsa.version:
  - 1
  - 2
...

	.end_amdgpu_metadata
